;; amdgpu-corpus repo=ROCm/rocFFT kind=compiled arch=gfx1030 opt=O3
	.text
	.amdgcn_target "amdgcn-amd-amdhsa--gfx1030"
	.amdhsa_code_object_version 6
	.protected	bluestein_single_back_len425_dim1_dp_op_CI_CI ; -- Begin function bluestein_single_back_len425_dim1_dp_op_CI_CI
	.globl	bluestein_single_back_len425_dim1_dp_op_CI_CI
	.p2align	8
	.type	bluestein_single_back_len425_dim1_dp_op_CI_CI,@function
bluestein_single_back_len425_dim1_dp_op_CI_CI: ; @bluestein_single_back_len425_dim1_dp_op_CI_CI
; %bb.0:
	s_load_dwordx4 s[8:11], s[4:5], 0x28
	v_mul_u32_u24_e32 v1, 0xf10, v0
	s_mov_b64 s[62:63], s[2:3]
	s_mov_b64 s[60:61], s[0:1]
	s_mov_b32 s0, exec_lo
	s_add_u32 s60, s60, s7
	v_lshrrev_b32_e32 v1, 16, v1
	s_addc_u32 s61, s61, 0
	v_mad_u64_u32 v[82:83], null, s6, 3, v[1:2]
	v_mov_b32_e32 v83, 0
	s_waitcnt lgkmcnt(0)
	v_cmpx_gt_u64_e64 s[8:9], v[82:83]
	s_cbranch_execz .LBB0_15
; %bb.1:
	s_clause 0x1
	s_load_dwordx4 s[0:3], s[4:5], 0x18
	s_load_dwordx2 s[6:7], s[4:5], 0x0
	v_mul_lo_u16 v1, v1, 17
	v_mul_hi_u32 v73, 0xaaaaaaab, v82
	v_mov_b32_e32 v83, v82
	v_sub_nc_u16 v2, v0, v1
	v_lshrrev_b32_e32 v73, 1, v73
	v_and_b32_e32 v158, 0xffff, v2
	v_lshl_add_u32 v81, v73, 1, v73
	v_lshlrev_b32_e32 v157, 4, v158
	s_waitcnt lgkmcnt(0)
	s_load_dwordx4 s[12:15], s[0:1], 0x0
	s_clause 0x3
	global_load_dwordx4 v[117:120], v157, s[6:7]
	global_load_dwordx4 v[97:100], v157, s[6:7] offset:400
	global_load_dwordx4 v[109:112], v157, s[6:7] offset:800
	;; [unrolled: 1-line block ×3, first 2 shown]
	v_add_co_u32 v8, s0, s6, v157
	v_add_co_ci_u32_e64 v9, null, s7, 0, s0
	s_clause 0x1
	global_load_dwordx4 v[105:108], v157, s[6:7] offset:1600
	global_load_dwordx4 v[113:116], v157, s[6:7] offset:2000
	v_add_co_u32 v11, vcc_lo, 0x800, v8
	v_add_co_ci_u32_e32 v12, vcc_lo, 0, v9, vcc_lo
	v_add_co_u32 v67, vcc_lo, 0x1000, v8
	v_add_co_ci_u32_e32 v68, vcc_lo, 0, v9, vcc_lo
	v_add_co_u32 v69, vcc_lo, 0x1800, v8
	buffer_store_dword v8, off, s[60:63], 0 offset:176 ; 4-byte Folded Spill
	buffer_store_dword v9, off, s[60:63], 0 offset:180 ; 4-byte Folded Spill
	s_clause 0x3
	global_load_dwordx4 v[167:170], v[11:12], off offset:352
	global_load_dwordx4 v[163:166], v[11:12], off offset:752
	;; [unrolled: 1-line block ×4, first 2 shown]
	buffer_store_dword v11, off, s[60:63], 0 offset:168 ; 4-byte Folded Spill
	buffer_store_dword v12, off, s[60:63], 0 offset:172 ; 4-byte Folded Spill
	s_waitcnt lgkmcnt(0)
	v_mad_u64_u32 v[0:1], null, s14, v82, 0
	v_mad_u64_u32 v[3:4], null, s12, v158, 0
	s_mul_i32 s1, s13, 25
	s_mul_hi_u32 s8, s12, 25
	s_mul_i32 s0, s12, 25
	s_add_i32 s1, s8, s1
	v_mad_u64_u32 v[5:6], null, s15, v82, v[1:2]
	s_lshl_b64 s[16:17], s[0:1], 4
	v_sub_nc_u32_e32 v85, v82, v81
	s_clause 0x1
	global_load_dwordx4 v[137:140], v[11:12], off offset:1952
	global_load_dwordx4 v[129:132], v[67:68], off offset:304
	v_mad_u64_u32 v[6:7], null, s13, v158, v[4:5]
	v_mov_b32_e32 v1, v5
	v_add_co_ci_u32_e32 v70, vcc_lo, 0, v9, vcc_lo
	s_clause 0x1
	global_load_dwordx4 v[125:128], v[67:68], off offset:704
	global_load_dwordx4 v[121:124], v[67:68], off offset:1104
	v_mul_u32_u24_e32 v93, 0x1a9, v85
	v_lshlrev_b64 v[0:1], 4, v[0:1]
	v_mov_b32_e32 v4, v6
	v_lshlrev_b32_e32 v153, 4, v93
	v_lshlrev_b64 v[5:6], 4, v[3:4]
	v_add_co_u32 v3, vcc_lo, s10, v0
	v_add_co_ci_u32_e32 v4, vcc_lo, s11, v1, vcc_lo
	v_add_nc_u32_e32 v156, v157, v153
	v_add_co_u32 v0, vcc_lo, v3, v5
	v_add_co_ci_u32_e32 v1, vcc_lo, v4, v6, vcc_lo
	v_add_co_u32 v9, vcc_lo, v0, s16
	v_add_co_ci_u32_e32 v10, vcc_lo, s17, v1, vcc_lo
	;; [unrolled: 2-line block ×3, first 2 shown]
	s_clause 0x1
	global_load_dwordx4 v[5:8], v[0:1], off
	global_load_dwordx4 v[9:12], v[9:10], off
	v_add_co_u32 v17, vcc_lo, v13, s16
	v_add_co_ci_u32_e32 v18, vcc_lo, s17, v14, vcc_lo
	v_add_co_u32 v0, vcc_lo, v17, s16
	v_add_co_ci_u32_e32 v1, vcc_lo, s17, v18, vcc_lo
	s_clause 0x1
	global_load_dwordx4 v[13:16], v[13:14], off
	global_load_dwordx4 v[17:20], v[17:18], off
	v_add_co_u32 v25, vcc_lo, v0, s16
	v_add_co_ci_u32_e32 v26, vcc_lo, s17, v1, vcc_lo
	global_load_dwordx4 v[21:24], v[0:1], off
	v_add_co_u32 v0, vcc_lo, v25, s16
	v_add_co_ci_u32_e32 v1, vcc_lo, s17, v26, vcc_lo
	;; [unrolled: 3-line block ×10, first 2 shown]
	global_load_dwordx4 v[57:60], v[57:58], off
	global_load_dwordx4 v[145:148], v[67:68], off offset:1504
	v_add_co_u32 v65, vcc_lo, v0, s16
	global_load_dwordx4 v[61:64], v[0:1], off
	buffer_store_dword v67, off, s[60:63], 0 offset:152 ; 4-byte Folded Spill
	buffer_store_dword v68, off, s[60:63], 0 offset:156 ; 4-byte Folded Spill
	v_add_co_ci_u32_e32 v66, vcc_lo, s17, v1, vcc_lo
	v_add_co_u32 v0, vcc_lo, v65, s16
	v_add_co_ci_u32_e32 v1, vcc_lo, s17, v66, vcc_lo
	v_cmp_gt_u16_e32 vcc_lo, 8, v2
	v_or_b32_e32 v2, 0xc0, v158
	global_load_dwordx4 v[141:144], v[67:68], off offset:1904
	global_load_dwordx4 v[65:68], v[65:66], off
	buffer_store_dword v69, off, s[60:63], 0 offset:160 ; 4-byte Folded Spill
	buffer_store_dword v70, off, s[60:63], 0 offset:164 ; 4-byte Folded Spill
	s_waitcnt vmcnt(17)
	v_mul_f64 v[73:74], v[7:8], v[119:120]
	s_waitcnt vmcnt(16)
	v_mul_f64 v[77:78], v[11:12], v[99:100]
	;; [unrolled: 2-line block ×6, first 2 shown]
	v_mul_f64 v[75:76], v[5:6], v[119:120]
	v_mul_f64 v[79:80], v[9:10], v[99:100]
	;; [unrolled: 1-line block ×5, first 2 shown]
	global_load_dwordx4 v[149:152], v[69:70], off offset:256
	global_load_dwordx4 v[69:72], v[0:1], off
	buffer_store_dword v83, off, s[60:63], 0 offset:200 ; 4-byte Folded Spill
	buffer_store_dword v84, off, s[60:63], 0 offset:204 ; 4-byte Folded Spill
	v_mul_f64 v[83:84], v[13:14], v[111:112]
	v_fma_f64 v[5:6], v[5:6], v[117:118], v[73:74]
	buffer_store_dword v117, off, s[60:63], 0 offset:272 ; 4-byte Folded Spill
	buffer_store_dword v118, off, s[60:63], 0 offset:276 ; 4-byte Folded Spill
	buffer_store_dword v119, off, s[60:63], 0 offset:280 ; 4-byte Folded Spill
	buffer_store_dword v120, off, s[60:63], 0 offset:284 ; 4-byte Folded Spill
	v_fma_f64 v[9:10], v[9:10], v[97:98], v[77:78]
	buffer_store_dword v97, off, s[60:63], 0 offset:184 ; 4-byte Folded Spill
	buffer_store_dword v98, off, s[60:63], 0 offset:188 ; 4-byte Folded Spill
	buffer_store_dword v99, off, s[60:63], 0 offset:192 ; 4-byte Folded Spill
	buffer_store_dword v100, off, s[60:63], 0 offset:196 ; 4-byte Folded Spill
	;; [unrolled: 5-line block ×6, first 2 shown]
	s_waitcnt vmcnt(13)
	v_mul_f64 v[73:74], v[31:32], v[169:170]
	s_waitcnt vmcnt(12)
	v_mul_f64 v[77:78], v[35:36], v[165:166]
	;; [unrolled: 2-line block ×11, first 2 shown]
	v_fma_f64 v[7:8], v[7:8], v[117:118], -v[75:76]
	v_mul_f64 v[75:76], v[29:30], v[169:170]
	v_fma_f64 v[11:12], v[11:12], v[97:98], -v[79:80]
	v_mul_f64 v[97:98], v[55:56], v[127:128]
	;; [unrolled: 2-line block ×6, first 2 shown]
	v_mul_f64 v[79:80], v[33:34], v[165:166]
	v_mul_f64 v[83:84], v[37:38], v[161:162]
	;; [unrolled: 1-line block ×5, first 2 shown]
	v_fma_f64 v[29:30], v[29:30], v[167:168], v[73:74]
	buffer_store_dword v167, off, s[60:63], 0 offset:448 ; 4-byte Folded Spill
	buffer_store_dword v168, off, s[60:63], 0 offset:452 ; 4-byte Folded Spill
	buffer_store_dword v169, off, s[60:63], 0 offset:456 ; 4-byte Folded Spill
	buffer_store_dword v170, off, s[60:63], 0 offset:460 ; 4-byte Folded Spill
	v_fma_f64 v[33:34], v[33:34], v[163:164], v[77:78]
	buffer_store_dword v163, off, s[60:63], 0 offset:432 ; 4-byte Folded Spill
	buffer_store_dword v164, off, s[60:63], 0 offset:436 ; 4-byte Folded Spill
	buffer_store_dword v165, off, s[60:63], 0 offset:440 ; 4-byte Folded Spill
	buffer_store_dword v166, off, s[60:63], 0 offset:444 ; 4-byte Folded Spill
	;; [unrolled: 5-line block ×11, first 2 shown]
	s_load_dwordx2 s[14:15], s[4:5], 0x38
	s_load_dwordx4 s[8:11], s[2:3], 0x0
	v_fma_f64 v[31:32], v[31:32], v[167:168], -v[75:76]
	v_fma_f64 v[35:36], v[35:36], v[163:164], -v[79:80]
	;; [unrolled: 1-line block ×7, first 2 shown]
	ds_write_b128 v156, v[5:8]
	ds_write_b128 v156, v[9:12] offset:400
	ds_write_b128 v156, v[13:16] offset:800
	;; [unrolled: 1-line block ×12, first 2 shown]
	v_fma_f64 v[59:60], v[59:60], v[121:122], -v[103:104]
	v_fma_f64 v[63:64], v[63:64], v[145:146], -v[107:108]
	;; [unrolled: 1-line block ×4, first 2 shown]
	buffer_store_dword v2, off, s[60:63], 0 offset:804 ; 4-byte Folded Spill
	v_or_b32_e32 v2, 0x188, v158
	buffer_store_dword v2, off, s[60:63], 0 offset:800 ; 4-byte Folded Spill
	ds_write_b128 v156, v[57:60] offset:5200
	ds_write_b128 v156, v[61:64] offset:5600
	ds_write_b128 v156, v[65:68] offset:6000
	ds_write_b128 v156, v[69:72] offset:6400
	s_and_saveexec_b32 s1, vcc_lo
	s_cbranch_execz .LBB0_3
; %bb.2:
	s_clause 0x1
	buffer_load_dword v41, off, s[60:63], 0 offset:176
	buffer_load_dword v42, off, s[60:63], 0 offset:180
	v_mad_u64_u32 v[0:1], null, 0xffffe810, s12, v[0:1]
	s_mul_i32 s0, s13, 0xffffe810
	v_or_b32_e32 v51, 0xc0, v158
	s_sub_i32 s0, s0, s12
	v_or_b32_e32 v61, 0x188, v158
	s_mul_i32 s2, s13, 0x320
	s_waitcnt vmcnt(0)
	s_clause 0x1
	global_load_dwordx4 v[5:8], v[41:42], off offset:272
	global_load_dwordx4 v[9:12], v[41:42], off offset:672
	v_add_nc_u32_e32 v1, s0, v1
	v_add_co_u32 v17, s0, v0, s16
	v_mad_u64_u32 v[45:46], null, s12, v51, 0
	v_add_co_ci_u32_e64 v18, s0, s17, v1, s0
	global_load_dwordx4 v[13:16], v[0:1], off
	v_add_co_u32 v0, s0, v17, s16
	v_add_co_ci_u32_e64 v1, s0, s17, v18, s0
	v_mov_b32_e32 v2, v46
	v_add_co_u32 v25, s0, v0, s16
	v_add_co_ci_u32_e64 v26, s0, s17, v1, s0
	v_mad_u64_u32 v[46:47], null, s13, v51, v[2:3]
	v_add_co_u32 v47, s0, v25, s16
	v_add_co_ci_u32_e64 v48, s0, s17, v26, s0
	global_load_dwordx4 v[17:20], v[17:18], off
	global_load_dwordx4 v[21:24], v[0:1], off
	;; [unrolled: 1-line block ×3, first 2 shown]
	s_clause 0x1
	global_load_dwordx4 v[29:32], v[41:42], off offset:1072
	global_load_dwordx4 v[33:36], v[41:42], off offset:1472
	global_load_dwordx4 v[37:40], v[47:48], off
	global_load_dwordx4 v[41:44], v[41:42], off offset:1872
	v_add_co_u32 v47, s0, v47, s16
	v_add_co_ci_u32_e64 v48, s0, s17, v48, s0
	v_mad_u64_u32 v[0:1], null, s12, v61, 0
	v_add_co_u32 v49, s0, v47, s16
	v_add_co_ci_u32_e64 v50, s0, s17, v48, s0
	v_lshlrev_b64 v[45:46], 4, v[45:46]
	v_mad_u64_u32 v[1:2], null, s13, v61, v[1:2]
	v_mad_u64_u32 v[73:74], null, 0x320, s12, v[49:50]
	v_add_co_u32 v53, s0, v3, v45
	v_add_co_ci_u32_e64 v54, s0, v4, v46, s0
	v_lshlrev_b64 v[0:1], 4, v[0:1]
	v_lshlrev_b32_e32 v2, 4, v51
	v_add_nc_u32_e32 v74, s2, v74
	v_add_co_u32 v81, s0, v73, s16
	global_load_dwordx4 v[45:48], v[47:48], off
	global_load_dwordx4 v[49:52], v[49:50], off
	;; [unrolled: 1-line block ×3, first 2 shown]
	global_load_dwordx4 v[57:60], v2, s[6:7]
	v_add_co_ci_u32_e64 v82, s0, s17, v74, s0
	v_add_co_u32 v85, s0, v81, s16
	v_add_co_ci_u32_e64 v86, s0, s17, v82, s0
	v_add_co_u32 v0, s0, v3, v0
	v_add_co_ci_u32_e64 v1, s0, v4, v1, s0
	v_lshlrev_b32_e32 v4, 4, v61
	v_add_co_u32 v97, s0, v85, s16
	global_load_dwordx4 v[0:3], v[0:1], off
	s_clause 0x1
	buffer_load_dword v89, off, s[60:63], 0 offset:168
	buffer_load_dword v90, off, s[60:63], 0 offset:172
	v_add_co_ci_u32_e64 v98, s0, s17, v86, s0
	v_add_co_u32 v101, s0, v97, s16
	s_waitcnt vmcnt(0)
	s_clause 0x2
	global_load_dwordx4 v[61:64], v[89:90], off offset:224
	global_load_dwordx4 v[65:68], v4, s[6:7]
	global_load_dwordx4 v[69:72], v[89:90], off offset:624
	global_load_dwordx4 v[73:76], v[73:74], off
	global_load_dwordx4 v[77:80], v[89:90], off offset:1424
	global_load_dwordx4 v[81:84], v[81:82], off
	global_load_dwordx4 v[85:88], v[85:86], off
	global_load_dwordx4 v[89:92], v[89:90], off offset:1824
	s_clause 0x1
	buffer_load_dword v125, off, s[60:63], 0 offset:152
	buffer_load_dword v126, off, s[60:63], 0 offset:156
	v_add_co_ci_u32_e64 v102, s0, s17, v98, s0
	v_add_co_u32 v113, s0, v101, s16
	v_mul_f64 v[137:138], v[15:16], v[7:8]
	v_add_co_ci_u32_e64 v114, s0, s17, v102, s0
	v_add_co_u32 v121, s0, v113, s16
	v_mul_f64 v[7:8], v[13:14], v[7:8]
	v_add_co_ci_u32_e64 v122, s0, s17, v114, s0
	v_mul_f64 v[139:140], v[19:20], v[11:12]
	v_mul_f64 v[141:142], v[17:18], v[11:12]
	;; [unrolled: 1-line block ×3, first 2 shown]
	v_mad_u64_u32 v[133:134], null, 0x320, s12, v[121:122]
	v_mul_f64 v[31:32], v[21:22], v[31:32]
	v_mul_f64 v[145:146], v[27:28], v[35:36]
	;; [unrolled: 1-line block ×6, first 2 shown]
	v_add_nc_u32_e32 v134, s2, v134
	v_mul_f64 v[59:60], v[53:54], v[59:60]
	s_waitcnt vmcnt(0)
	global_load_dwordx4 v[93:96], v[125:126], off offset:176
	global_load_dwordx4 v[97:100], v[97:98], off
	global_load_dwordx4 v[101:104], v[101:102], off
	s_clause 0x1
	global_load_dwordx4 v[105:108], v[125:126], off offset:576
	global_load_dwordx4 v[109:112], v[125:126], off offset:976
	global_load_dwordx4 v[113:116], v[113:114], off
	global_load_dwordx4 v[117:120], v[125:126], off offset:1376
	global_load_dwordx4 v[121:124], v[121:122], off
	global_load_dwordx4 v[125:128], v[125:126], off offset:1776
	s_clause 0x1
	buffer_load_dword v129, off, s[60:63], 0 offset:160
	buffer_load_dword v130, off, s[60:63], 0 offset:164
	v_mul_f64 v[151:152], v[47:48], v[63:64]
	v_mul_f64 v[63:64], v[45:46], v[63:64]
	v_fma_f64 v[11:12], v[13:14], v[5:6], v[137:138]
	v_fma_f64 v[13:14], v[15:16], v[5:6], -v[7:8]
	v_fma_f64 v[4:5], v[17:18], v[9:10], v[139:140]
	v_fma_f64 v[6:7], v[19:20], v[9:10], -v[141:142]
	v_mul_f64 v[8:9], v[51:52], v[71:72]
	v_mul_f64 v[71:72], v[49:50], v[71:72]
	v_fma_f64 v[17:18], v[23:24], v[29:30], -v[31:32]
	v_fma_f64 v[19:20], v[25:26], v[33:34], v[145:146]
	v_fma_f64 v[23:24], v[37:38], v[41:42], v[147:148]
	v_fma_f64 v[25:26], v[39:40], v[41:42], -v[43:44]
	v_mul_f64 v[39:40], v[75:76], v[79:80]
	v_mul_f64 v[41:42], v[73:74], v[79:80]
	v_fma_f64 v[15:16], v[21:22], v[29:30], v[143:144]
	v_fma_f64 v[21:22], v[27:28], v[33:34], -v[35:36]
	v_fma_f64 v[27:28], v[53:54], v[57:58], v[149:150]
	v_mul_f64 v[43:44], v[83:84], v[91:92]
	v_mul_f64 v[53:54], v[81:82], v[91:92]
	v_fma_f64 v[29:30], v[55:56], v[57:58], -v[59:60]
	v_mul_f64 v[137:138], v[2:3], v[67:68]
	v_mul_f64 v[67:68], v[0:1], v[67:68]
	v_fma_f64 v[31:32], v[45:46], v[61:62], v[151:152]
	v_fma_f64 v[33:34], v[47:48], v[61:62], -v[63:64]
	s_waitcnt vmcnt(0)
	global_load_dwordx4 v[129:132], v[129:130], off offset:528
	global_load_dwordx4 v[133:136], v[133:134], off
	v_mul_f64 v[55:56], v[87:88], v[95:96]
	v_mul_f64 v[57:58], v[85:86], v[95:96]
	;; [unrolled: 1-line block ×10, first 2 shown]
	v_fma_f64 v[35:36], v[49:50], v[69:70], v[8:9]
	v_fma_f64 v[37:38], v[51:52], v[69:70], -v[71:72]
	v_fma_f64 v[39:40], v[73:74], v[77:78], v[39:40]
	v_fma_f64 v[41:42], v[75:76], v[77:78], -v[41:42]
	;; [unrolled: 2-line block ×9, first 2 shown]
	s_waitcnt vmcnt(0)
	v_mul_f64 v[139:140], v[135:136], v[131:132]
	v_mul_f64 v[131:132], v[133:134], v[131:132]
	v_fma_f64 v[67:68], v[133:134], v[129:130], v[139:140]
	v_fma_f64 v[69:70], v[135:136], v[129:130], -v[131:132]
	ds_write_b128 v156, v[11:14] offset:272
	ds_write_b128 v156, v[4:7] offset:672
	;; [unrolled: 1-line block ×17, first 2 shown]
.LBB0_3:
	s_or_b32 exec_lo, exec_lo, s1
	buffer_store_dword v153, off, s[60:63], 0 offset:4 ; 4-byte Folded Spill
	s_waitcnt lgkmcnt(0)
	s_waitcnt_vscnt null, 0x0
	s_barrier
	buffer_gl0_inv
	ds_read_b128 v[76:79], v156
	ds_read_b128 v[84:87], v156 offset:400
	ds_read_b128 v[72:75], v156 offset:800
	;; [unrolled: 1-line block ×16, first 2 shown]
	s_load_dwordx2 s[0:1], s[4:5], 0x8
                                        ; implicit-def: $vgpr20_vgpr21
                                        ; implicit-def: $vgpr104_vgpr105
                                        ; implicit-def: $vgpr108_vgpr109
                                        ; implicit-def: $vgpr112_vgpr113
                                        ; implicit-def: $vgpr120_vgpr121
                                        ; implicit-def: $vgpr124_vgpr125
                                        ; implicit-def: $vgpr128_vgpr129
                                        ; implicit-def: $vgpr132_vgpr133
                                        ; implicit-def: $vgpr136_vgpr137
                                        ; implicit-def: $vgpr140_vgpr141
                                        ; implicit-def: $vgpr144_vgpr145
                                        ; implicit-def: $vgpr116_vgpr117
                                        ; implicit-def: $vgpr16_vgpr17
                                        ; implicit-def: $vgpr12_vgpr13
                                        ; implicit-def: $vgpr8_vgpr9
                                        ; implicit-def: $vgpr4_vgpr5
                                        ; implicit-def: $vgpr0_vgpr1
	s_and_saveexec_b32 s2, vcc_lo
	s_cbranch_execz .LBB0_5
; %bb.4:
	ds_read_b128 v[20:23], v156 offset:272
	ds_read_b128 v[104:107], v156 offset:672
	;; [unrolled: 1-line block ×17, first 2 shown]
.LBB0_5:
	s_or_b32 exec_lo, exec_lo, s2
	v_add_co_u32 v92, null, v158, 17
	s_waitcnt lgkmcnt(0)
	v_add_f64 v[94:95], v[78:79], v[86:87]
	s_mov_b32 s44, 0x5d8e7cdc
	s_mov_b32 s48, 0x2a9d6da3
	buffer_store_dword v92, off, s[60:63], 0 offset:464 ; 4-byte Folded Spill
	v_add_f64 v[92:93], v[76:77], v[84:85]
	s_mov_b32 s52, 0x7c9e640b
	s_mov_b32 s46, 0xeb564b22
	;; [unrolled: 1-line block ×17, first 2 shown]
	v_add_f64 v[94:95], v[94:95], v[74:75]
	s_mov_b32 s16, 0x3259b75e
	s_mov_b32 s20, 0xc61f0d01
	;; [unrolled: 1-line block ×3, first 2 shown]
	v_add_f64 v[92:93], v[92:93], v[72:73]
	s_mov_b32 s22, 0x910ea3b9
	s_mov_b32 s24, 0x7faef3
	;; [unrolled: 1-line block ×17, first 2 shown]
	v_add_f64 v[94:95], v[94:95], v[66:67]
	s_mov_b32 s42, s44
	s_mov_b32 s59, 0x3fc7851a
	s_mov_b32 s58, s40
	v_add_f64 v[92:93], v[92:93], v[64:65]
	s_mov_b32 s37, 0x3fe58eea
	s_mov_b32 s36, s48
	;; [unrolled: 1-line block ×6, first 2 shown]
	v_add_f64 v[220:221], v[120:121], v[12:13]
	v_add_f64 v[222:223], v[122:123], v[14:15]
	v_add_f64 v[210:211], v[128:129], v[116:117]
	v_add_f64 v[212:213], v[130:131], v[118:119]
	v_add_f64 v[226:227], v[134:135], -v[146:147]
	v_add_f64 v[238:239], v[132:133], -v[144:145]
	v_add_f64 v[94:95], v[94:95], v[58:59]
	v_add_f64 v[92:93], v[92:93], v[56:57]
	v_mul_f64 v[202:203], v[226:227], s[56:57]
	v_mul_f64 v[200:201], v[238:239], s[46:47]
	v_mul_f64 v[204:205], v[238:239], s[56:57]
	v_mul_f64 v[206:207], v[226:227], s[44:45]
	v_mul_f64 v[208:209], v[238:239], s[44:45]
	v_add_f64 v[94:95], v[94:95], v[50:51]
	v_add_f64 v[92:93], v[92:93], v[48:49]
	;; [unrolled: 1-line block ×24, first 2 shown]
	buffer_store_dword v92, off, s[60:63], 0 offset:480 ; 4-byte Folded Spill
	buffer_store_dword v93, off, s[60:63], 0 offset:484 ; 4-byte Folded Spill
	;; [unrolled: 1-line block ×4, first 2 shown]
	v_add_f64 v[94:95], v[86:87], v[90:91]
	v_add_f64 v[86:87], v[86:87], -v[90:91]
	v_add_f64 v[92:93], v[84:85], v[88:89]
	v_add_f64 v[84:85], v[84:85], -v[88:89]
	v_mul_f64 v[88:89], v[86:87], s[44:45]
	v_mul_f64 v[100:101], v[86:87], s[48:49]
	;; [unrolled: 1-line block ×16, first 2 shown]
	v_fma_f64 v[90:91], v[92:93], s[2:3], -v[88:89]
	v_fma_f64 v[88:89], v[92:93], s[2:3], v[88:89]
	v_fma_f64 v[102:103], v[92:93], s[4:5], -v[100:101]
	v_fma_f64 v[100:101], v[92:93], s[4:5], v[100:101]
	;; [unrolled: 2-line block ×8, first 2 shown]
	v_fma_f64 v[98:99], v[94:95], s[2:3], v[96:97]
	v_fma_f64 v[96:97], v[94:95], s[2:3], -v[96:97]
	v_fma_f64 v[150:151], v[94:95], s[4:5], v[148:149]
	v_fma_f64 v[148:149], v[94:95], s[4:5], -v[148:149]
	v_fma_f64 v[162:163], v[94:95], s[12:13], v[160:161]
	v_fma_f64 v[160:161], v[94:95], s[12:13], -v[160:161]
	v_add_f64 v[90:91], v[76:77], v[90:91]
	v_add_f64 v[88:89], v[76:77], v[88:89]
	;; [unrolled: 1-line block ×7, first 2 shown]
	v_fma_f64 v[170:171], v[94:95], s[16:17], v[168:169]
	v_add_f64 v[164:165], v[76:77], v[164:165]
	v_fma_f64 v[168:169], v[94:95], s[16:17], -v[168:169]
	v_add_f64 v[174:175], v[76:77], v[174:175]
	v_fma_f64 v[178:179], v[94:95], s[20:21], v[176:177]
	v_add_f64 v[172:173], v[76:77], v[172:173]
	v_fma_f64 v[176:177], v[94:95], s[20:21], -v[176:177]
	v_add_f64 v[182:183], v[76:77], v[182:183]
	;; [unrolled: 4-line block ×5, first 2 shown]
	v_add_f64 v[74:75], v[74:75], -v[82:83]
	v_add_f64 v[98:99], v[78:79], v[98:99]
	v_add_f64 v[96:97], v[78:79], v[96:97]
	;; [unrolled: 1-line block ×17, first 2 shown]
	v_add_f64 v[72:73], v[72:73], -v[80:81]
	v_mul_f64 v[80:81], v[74:75], s[48:49]
	v_fma_f64 v[82:83], v[84:85], s[4:5], -v[80:81]
	v_fma_f64 v[80:81], v[84:85], s[4:5], v[80:81]
	v_add_f64 v[82:83], v[82:83], v[90:91]
	v_mul_f64 v[90:91], v[72:73], s[48:49]
	v_add_f64 v[80:81], v[80:81], v[88:89]
	v_fma_f64 v[92:93], v[86:87], s[4:5], v[90:91]
	v_fma_f64 v[88:89], v[86:87], s[4:5], -v[90:91]
	v_mul_f64 v[90:91], v[74:75], s[46:47]
	v_add_f64 v[92:93], v[92:93], v[98:99]
	v_add_f64 v[88:89], v[88:89], v[96:97]
	v_fma_f64 v[94:95], v[84:85], s[16:17], -v[90:91]
	v_mul_f64 v[96:97], v[72:73], s[46:47]
	v_fma_f64 v[90:91], v[84:85], s[16:17], v[90:91]
	v_add_f64 v[94:95], v[94:95], v[102:103]
	v_fma_f64 v[98:99], v[86:87], s[16:17], v[96:97]
	v_add_f64 v[90:91], v[90:91], v[100:101]
	v_fma_f64 v[96:97], v[86:87], s[16:17], -v[96:97]
	v_mul_f64 v[100:101], v[74:75], s[28:29]
	v_add_f64 v[98:99], v[98:99], v[150:151]
	v_add_f64 v[96:97], v[96:97], v[148:149]
	v_fma_f64 v[102:103], v[84:85], s[18:19], -v[100:101]
	v_mul_f64 v[148:149], v[72:73], s[28:29]
	v_fma_f64 v[100:101], v[84:85], s[18:19], v[100:101]
	v_add_f64 v[102:103], v[102:103], v[154:155]
	v_fma_f64 v[150:151], v[86:87], s[18:19], v[148:149]
	v_add_f64 v[100:101], v[100:101], v[152:153]
	v_fma_f64 v[148:149], v[86:87], s[18:19], -v[148:149]
	v_mul_f64 v[152:153], v[74:75], s[40:41]
	v_add_f64 v[150:151], v[150:151], v[162:163]
	v_add_f64 v[148:149], v[148:149], v[160:161]
	v_fma_f64 v[154:155], v[84:85], s[24:25], -v[152:153]
	v_mul_f64 v[160:161], v[72:73], s[40:41]
	v_fma_f64 v[152:153], v[84:85], s[24:25], v[152:153]
	v_add_f64 v[154:155], v[154:155], v[166:167]
	v_fma_f64 v[162:163], v[86:87], s[24:25], v[160:161]
	v_add_f64 v[152:153], v[152:153], v[164:165]
	v_fma_f64 v[160:161], v[86:87], s[24:25], -v[160:161]
	v_mul_f64 v[164:165], v[74:75], s[54:55]
	v_add_f64 v[162:163], v[162:163], v[170:171]
	v_add_f64 v[160:161], v[160:161], v[168:169]
	v_fma_f64 v[166:167], v[84:85], s[22:23], -v[164:165]
	v_mul_f64 v[168:169], v[72:73], s[54:55]
	v_fma_f64 v[164:165], v[84:85], s[22:23], v[164:165]
	v_add_f64 v[166:167], v[166:167], v[174:175]
	v_fma_f64 v[170:171], v[86:87], s[22:23], v[168:169]
	v_add_f64 v[164:165], v[164:165], v[172:173]
	v_fma_f64 v[168:169], v[86:87], s[22:23], -v[168:169]
	v_mul_f64 v[172:173], v[74:75], s[50:51]
	v_add_f64 v[170:171], v[170:171], v[178:179]
	v_add_f64 v[168:169], v[168:169], v[176:177]
	v_fma_f64 v[174:175], v[84:85], s[20:21], -v[172:173]
	v_mul_f64 v[176:177], v[72:73], s[50:51]
	v_fma_f64 v[172:173], v[84:85], s[20:21], v[172:173]
	v_add_f64 v[174:175], v[174:175], v[182:183]
	v_fma_f64 v[178:179], v[86:87], s[20:21], v[176:177]
	v_add_f64 v[172:173], v[172:173], v[180:181]
	v_fma_f64 v[176:177], v[86:87], s[20:21], -v[176:177]
	v_mul_f64 v[180:181], v[74:75], s[30:31]
	v_mul_f64 v[74:75], v[74:75], s[42:43]
	v_add_f64 v[178:179], v[178:179], v[186:187]
	v_add_f64 v[176:177], v[176:177], v[184:185]
	v_fma_f64 v[182:183], v[84:85], s[12:13], -v[180:181]
	v_mul_f64 v[184:185], v[72:73], s[30:31]
	v_mul_f64 v[72:73], v[72:73], s[42:43]
	v_fma_f64 v[180:181], v[84:85], s[12:13], v[180:181]
	v_add_f64 v[182:183], v[182:183], v[190:191]
	v_fma_f64 v[186:187], v[86:87], s[12:13], v[184:185]
	v_fma_f64 v[190:191], v[86:87], s[2:3], v[72:73]
	v_fma_f64 v[72:73], v[86:87], s[2:3], -v[72:73]
	v_add_f64 v[180:181], v[180:181], v[188:189]
	v_fma_f64 v[188:189], v[84:85], s[2:3], -v[74:75]
	v_fma_f64 v[74:75], v[84:85], s[2:3], v[74:75]
	v_fma_f64 v[184:185], v[86:87], s[12:13], -v[184:185]
	v_add_f64 v[186:187], v[186:187], v[194:195]
	v_add_f64 v[190:191], v[190:191], v[198:199]
	v_add_f64 v[72:73], v[72:73], v[78:79]
	v_add_f64 v[78:79], v[66:67], v[70:71]
	v_add_f64 v[66:67], v[66:67], -v[70:71]
	v_add_f64 v[74:75], v[74:75], v[76:77]
	v_add_f64 v[76:77], v[64:65], v[68:69]
	v_add_f64 v[64:65], v[64:65], -v[68:69]
	v_add_f64 v[184:185], v[184:185], v[192:193]
	v_add_f64 v[188:189], v[188:189], v[196:197]
	v_mul_f64 v[192:193], v[226:227], s[30:31]
	v_mul_f64 v[194:195], v[238:239], s[30:31]
	;; [unrolled: 1-line block ×4, first 2 shown]
	v_fma_f64 v[70:71], v[76:77], s[12:13], -v[68:69]
	v_fma_f64 v[68:69], v[76:77], s[12:13], v[68:69]
	v_add_f64 v[70:71], v[70:71], v[82:83]
	v_mul_f64 v[82:83], v[64:65], s[52:53]
	v_add_f64 v[68:69], v[68:69], v[80:81]
	v_fma_f64 v[84:85], v[78:79], s[12:13], v[82:83]
	v_fma_f64 v[80:81], v[78:79], s[12:13], -v[82:83]
	v_mul_f64 v[82:83], v[66:67], s[28:29]
	v_add_f64 v[84:85], v[84:85], v[92:93]
	v_add_f64 v[80:81], v[80:81], v[88:89]
	v_fma_f64 v[86:87], v[76:77], s[18:19], -v[82:83]
	v_fma_f64 v[82:83], v[76:77], s[18:19], v[82:83]
	v_mul_f64 v[88:89], v[64:65], s[28:29]
	v_add_f64 v[86:87], v[86:87], v[94:95]
	v_add_f64 v[82:83], v[82:83], v[90:91]
	v_mul_f64 v[90:91], v[66:67], s[58:59]
	v_fma_f64 v[92:93], v[78:79], s[18:19], v[88:89]
	v_fma_f64 v[88:89], v[78:79], s[18:19], -v[88:89]
	v_fma_f64 v[94:95], v[76:77], s[24:25], -v[90:91]
	v_fma_f64 v[90:91], v[76:77], s[24:25], v[90:91]
	v_add_f64 v[88:89], v[88:89], v[96:97]
	v_mul_f64 v[96:97], v[64:65], s[58:59]
	v_add_f64 v[92:93], v[92:93], v[98:99]
	v_add_f64 v[94:95], v[94:95], v[102:103]
	v_add_f64 v[90:91], v[90:91], v[100:101]
	v_mul_f64 v[100:101], v[66:67], s[50:51]
	v_fma_f64 v[98:99], v[78:79], s[24:25], v[96:97]
	v_fma_f64 v[96:97], v[78:79], s[24:25], -v[96:97]
	v_fma_f64 v[102:103], v[76:77], s[20:21], -v[100:101]
	v_fma_f64 v[100:101], v[76:77], s[20:21], v[100:101]
	v_add_f64 v[96:97], v[96:97], v[148:149]
	v_mul_f64 v[148:149], v[64:65], s[50:51]
	v_add_f64 v[98:99], v[98:99], v[150:151]
	;; [unrolled: 10-line block ×4, first 2 shown]
	v_add_f64 v[166:167], v[166:167], v[174:175]
	v_add_f64 v[164:165], v[164:165], v[172:173]
	v_mul_f64 v[172:173], v[66:67], s[46:47]
	v_fma_f64 v[170:171], v[78:79], s[2:3], v[168:169]
	v_fma_f64 v[168:169], v[78:79], s[2:3], -v[168:169]
	v_mul_f64 v[66:67], v[66:67], s[34:35]
	v_fma_f64 v[174:175], v[76:77], s[16:17], -v[172:173]
	v_fma_f64 v[172:173], v[76:77], s[16:17], v[172:173]
	v_add_f64 v[168:169], v[168:169], v[176:177]
	v_mul_f64 v[176:177], v[64:65], s[46:47]
	v_mul_f64 v[64:65], v[64:65], s[34:35]
	v_add_f64 v[170:171], v[170:171], v[178:179]
	v_add_f64 v[174:175], v[174:175], v[182:183]
	;; [unrolled: 1-line block ×3, first 2 shown]
	v_fma_f64 v[180:181], v[76:77], s[22:23], -v[66:67]
	v_fma_f64 v[66:67], v[76:77], s[22:23], v[66:67]
	v_fma_f64 v[182:183], v[78:79], s[22:23], v[64:65]
	v_fma_f64 v[64:65], v[78:79], s[22:23], -v[64:65]
	v_fma_f64 v[178:179], v[78:79], s[16:17], v[176:177]
	v_fma_f64 v[176:177], v[78:79], s[16:17], -v[176:177]
	v_add_f64 v[180:181], v[180:181], v[188:189]
	v_add_f64 v[66:67], v[66:67], v[74:75]
	;; [unrolled: 1-line block ×3, first 2 shown]
	v_add_f64 v[58:59], v[58:59], -v[62:63]
	v_add_f64 v[64:65], v[64:65], v[72:73]
	v_add_f64 v[72:73], v[56:57], v[60:61]
	v_add_f64 v[56:57], v[56:57], -v[60:61]
	v_add_f64 v[178:179], v[178:179], v[186:187]
	v_add_f64 v[176:177], v[176:177], v[184:185]
	;; [unrolled: 1-line block ×3, first 2 shown]
	v_add_f64 v[188:189], v[130:131], -v[118:119]
	v_add_f64 v[184:185], v[128:129], -v[116:117]
	v_mul_f64 v[60:61], v[58:59], s[46:47]
	v_mul_f64 v[244:245], v[188:189], s[38:39]
	;; [unrolled: 1-line block ×3, first 2 shown]
	v_fma_f64 v[62:63], v[72:73], s[16:17], -v[60:61]
	v_fma_f64 v[60:61], v[72:73], s[16:17], v[60:61]
	v_add_f64 v[62:63], v[62:63], v[70:71]
	v_mul_f64 v[70:71], v[56:57], s[46:47]
	v_add_f64 v[60:61], v[60:61], v[68:69]
	v_fma_f64 v[76:77], v[74:75], s[16:17], v[70:71]
	v_fma_f64 v[68:69], v[74:75], s[16:17], -v[70:71]
	v_mul_f64 v[70:71], v[58:59], s[40:41]
	v_add_f64 v[76:77], v[76:77], v[84:85]
	v_add_f64 v[68:69], v[68:69], v[80:81]
	v_fma_f64 v[78:79], v[72:73], s[24:25], -v[70:71]
	v_fma_f64 v[70:71], v[72:73], s[24:25], v[70:71]
	v_mul_f64 v[80:81], v[56:57], s[40:41]
	v_add_f64 v[78:79], v[78:79], v[86:87]
	v_add_f64 v[70:71], v[70:71], v[82:83]
	v_mul_f64 v[82:83], v[58:59], s[50:51]
	v_fma_f64 v[84:85], v[74:75], s[24:25], v[80:81]
	v_fma_f64 v[80:81], v[74:75], s[24:25], -v[80:81]
	v_fma_f64 v[86:87], v[72:73], s[20:21], -v[82:83]
	v_fma_f64 v[82:83], v[72:73], s[20:21], v[82:83]
	v_add_f64 v[80:81], v[80:81], v[88:89]
	v_mul_f64 v[88:89], v[56:57], s[50:51]
	v_add_f64 v[84:85], v[84:85], v[92:93]
	v_add_f64 v[86:87], v[86:87], v[94:95]
	v_add_f64 v[82:83], v[82:83], v[90:91]
	v_mul_f64 v[90:91], v[58:59], s[42:43]
	v_fma_f64 v[92:93], v[74:75], s[20:21], v[88:89]
	v_fma_f64 v[88:89], v[74:75], s[20:21], -v[88:89]
	v_fma_f64 v[94:95], v[72:73], s[2:3], -v[90:91]
	v_fma_f64 v[90:91], v[72:73], s[2:3], v[90:91]
	v_add_f64 v[88:89], v[88:89], v[96:97]
	v_mul_f64 v[96:97], v[56:57], s[42:43]
	v_add_f64 v[92:93], v[92:93], v[98:99]
	;; [unrolled: 10-line block ×4, first 2 shown]
	v_add_f64 v[154:155], v[154:155], v[166:167]
	v_add_f64 v[152:153], v[152:153], v[164:165]
	v_mul_f64 v[164:165], v[58:59], s[56:57]
	v_fma_f64 v[162:163], v[74:75], s[22:23], v[160:161]
	v_fma_f64 v[160:161], v[74:75], s[22:23], -v[160:161]
	v_mul_f64 v[58:59], v[58:59], s[36:37]
	v_fma_f64 v[166:167], v[72:73], s[18:19], -v[164:165]
	v_fma_f64 v[164:165], v[72:73], s[18:19], v[164:165]
	v_add_f64 v[160:161], v[160:161], v[168:169]
	v_mul_f64 v[168:169], v[56:57], s[56:57]
	v_mul_f64 v[56:57], v[56:57], s[36:37]
	v_add_f64 v[162:163], v[162:163], v[170:171]
	v_add_f64 v[166:167], v[166:167], v[174:175]
	;; [unrolled: 1-line block ×3, first 2 shown]
	v_fma_f64 v[172:173], v[72:73], s[4:5], -v[58:59]
	v_fma_f64 v[58:59], v[72:73], s[4:5], v[58:59]
	v_fma_f64 v[174:175], v[74:75], s[4:5], v[56:57]
	v_fma_f64 v[56:57], v[74:75], s[4:5], -v[56:57]
	v_fma_f64 v[170:171], v[74:75], s[18:19], v[168:169]
	v_fma_f64 v[168:169], v[74:75], s[18:19], -v[168:169]
	v_add_f64 v[172:173], v[172:173], v[180:181]
	v_add_f64 v[58:59], v[58:59], v[66:67]
	;; [unrolled: 1-line block ×3, first 2 shown]
	v_add_f64 v[50:51], v[50:51], -v[54:55]
	v_add_f64 v[56:57], v[56:57], v[64:65]
	v_add_f64 v[64:65], v[48:49], v[52:53]
	v_add_f64 v[48:49], v[48:49], -v[52:53]
	v_add_f64 v[170:171], v[170:171], v[178:179]
	v_add_f64 v[168:169], v[168:169], v[176:177]
	;; [unrolled: 1-line block ×3, first 2 shown]
	v_mul_f64 v[52:53], v[50:51], s[26:27]
	v_mul_f64 v[74:75], v[48:49], s[54:55]
	v_fma_f64 v[54:55], v[64:65], s[20:21], -v[52:53]
	v_fma_f64 v[52:53], v[64:65], s[20:21], v[52:53]
	v_add_f64 v[54:55], v[54:55], v[62:63]
	v_mul_f64 v[62:63], v[48:49], s[26:27]
	v_add_f64 v[52:53], v[52:53], v[60:61]
	v_fma_f64 v[72:73], v[66:67], s[20:21], v[62:63]
	v_fma_f64 v[60:61], v[66:67], s[20:21], -v[62:63]
	v_mul_f64 v[62:63], v[50:51], s[54:55]
	v_add_f64 v[72:73], v[72:73], v[76:77]
	v_add_f64 v[60:61], v[60:61], v[68:69]
	v_fma_f64 v[68:69], v[64:65], s[22:23], -v[62:63]
	v_fma_f64 v[62:63], v[64:65], s[22:23], v[62:63]
	v_fma_f64 v[76:77], v[66:67], s[22:23], v[74:75]
	v_add_f64 v[68:69], v[68:69], v[78:79]
	v_add_f64 v[62:63], v[62:63], v[70:71]
	v_fma_f64 v[70:71], v[66:67], s[22:23], -v[74:75]
	v_mul_f64 v[74:75], v[50:51], s[36:37]
	v_add_f64 v[76:77], v[76:77], v[84:85]
	v_add_f64 v[70:71], v[70:71], v[80:81]
	v_fma_f64 v[78:79], v[64:65], s[4:5], -v[74:75]
	v_fma_f64 v[74:75], v[64:65], s[4:5], v[74:75]
	v_mul_f64 v[80:81], v[48:49], s[36:37]
	v_add_f64 v[78:79], v[78:79], v[86:87]
	v_add_f64 v[74:75], v[74:75], v[82:83]
	v_mul_f64 v[82:83], v[50:51], s[52:53]
	v_fma_f64 v[84:85], v[66:67], s[4:5], v[80:81]
	v_fma_f64 v[80:81], v[66:67], s[4:5], -v[80:81]
	v_fma_f64 v[86:87], v[64:65], s[12:13], -v[82:83]
	v_fma_f64 v[82:83], v[64:65], s[12:13], v[82:83]
	v_add_f64 v[80:81], v[80:81], v[88:89]
	v_mul_f64 v[88:89], v[48:49], s[52:53]
	v_add_f64 v[84:85], v[84:85], v[92:93]
	v_add_f64 v[86:87], v[86:87], v[94:95]
	v_add_f64 v[82:83], v[82:83], v[90:91]
	v_mul_f64 v[90:91], v[50:51], s[40:41]
	v_fma_f64 v[92:93], v[66:67], s[12:13], v[88:89]
	v_fma_f64 v[88:89], v[66:67], s[12:13], -v[88:89]
	v_fma_f64 v[94:95], v[64:65], s[24:25], -v[90:91]
	v_fma_f64 v[90:91], v[64:65], s[24:25], v[90:91]
	v_add_f64 v[88:89], v[88:89], v[96:97]
	v_mul_f64 v[96:97], v[48:49], s[40:41]
	v_add_f64 v[92:93], v[92:93], v[98:99]
	;; [unrolled: 10-line block ×3, first 2 shown]
	v_add_f64 v[102:103], v[102:103], v[154:155]
	v_add_f64 v[100:101], v[100:101], v[152:153]
	v_mul_f64 v[152:153], v[50:51], s[44:45]
	v_fma_f64 v[150:151], v[66:67], s[16:17], v[148:149]
	v_fma_f64 v[148:149], v[66:67], s[16:17], -v[148:149]
	v_mul_f64 v[50:51], v[50:51], s[28:29]
	v_fma_f64 v[154:155], v[64:65], s[2:3], -v[152:153]
	v_fma_f64 v[152:153], v[64:65], s[2:3], v[152:153]
	v_add_f64 v[148:149], v[148:149], v[160:161]
	v_mul_f64 v[160:161], v[48:49], s[44:45]
	v_mul_f64 v[48:49], v[48:49], s[28:29]
	v_add_f64 v[150:151], v[150:151], v[162:163]
	v_add_f64 v[154:155], v[154:155], v[166:167]
	;; [unrolled: 1-line block ×3, first 2 shown]
	v_fma_f64 v[164:165], v[64:65], s[18:19], -v[50:51]
	v_fma_f64 v[50:51], v[64:65], s[18:19], v[50:51]
	v_fma_f64 v[166:167], v[66:67], s[18:19], v[48:49]
	v_fma_f64 v[48:49], v[66:67], s[18:19], -v[48:49]
	v_fma_f64 v[162:163], v[66:67], s[2:3], v[160:161]
	v_fma_f64 v[160:161], v[66:67], s[2:3], -v[160:161]
	v_add_f64 v[164:165], v[164:165], v[172:173]
	v_add_f64 v[50:51], v[50:51], v[58:59]
	v_add_f64 v[58:59], v[42:43], v[46:47]
	v_add_f64 v[42:43], v[42:43], -v[46:47]
	v_add_f64 v[48:49], v[48:49], v[56:57]
	v_add_f64 v[56:57], v[40:41], v[44:45]
	v_add_f64 v[40:41], v[40:41], -v[44:45]
	v_add_f64 v[162:163], v[162:163], v[170:171]
	v_add_f64 v[160:161], v[160:161], v[168:169]
	;; [unrolled: 1-line block ×3, first 2 shown]
	v_mul_f64 v[44:45], v[42:43], s[28:29]
	v_mul_f64 v[66:67], v[40:41], s[50:51]
	v_fma_f64 v[46:47], v[56:57], s[18:19], -v[44:45]
	v_fma_f64 v[44:45], v[56:57], s[18:19], v[44:45]
	v_add_f64 v[46:47], v[46:47], v[54:55]
	v_mul_f64 v[54:55], v[40:41], s[28:29]
	v_add_f64 v[44:45], v[44:45], v[52:53]
	v_fma_f64 v[64:65], v[58:59], s[18:19], v[54:55]
	v_fma_f64 v[52:53], v[58:59], s[18:19], -v[54:55]
	v_mul_f64 v[54:55], v[42:43], s[50:51]
	v_add_f64 v[64:65], v[64:65], v[72:73]
	v_add_f64 v[52:53], v[52:53], v[60:61]
	v_fma_f64 v[60:61], v[56:57], s[20:21], -v[54:55]
	v_fma_f64 v[54:55], v[56:57], s[20:21], v[54:55]
	v_mul_f64 v[72:73], v[40:41], s[44:45]
	v_add_f64 v[60:61], v[60:61], v[68:69]
	v_fma_f64 v[68:69], v[58:59], s[20:21], v[66:67]
	v_add_f64 v[54:55], v[54:55], v[62:63]
	v_fma_f64 v[62:63], v[58:59], s[20:21], -v[66:67]
	v_mul_f64 v[66:67], v[42:43], s[44:45]
	v_add_f64 v[68:69], v[68:69], v[76:77]
	v_fma_f64 v[76:77], v[58:59], s[2:3], v[72:73]
	v_add_f64 v[62:63], v[62:63], v[70:71]
	v_fma_f64 v[70:71], v[56:57], s[2:3], -v[66:67]
	v_fma_f64 v[66:67], v[56:57], s[2:3], v[66:67]
	v_fma_f64 v[72:73], v[58:59], s[2:3], -v[72:73]
	v_add_f64 v[76:77], v[76:77], v[84:85]
	v_add_f64 v[70:71], v[70:71], v[78:79]
	;; [unrolled: 1-line block ×3, first 2 shown]
	v_mul_f64 v[74:75], v[42:43], s[34:35]
	v_add_f64 v[72:73], v[72:73], v[80:81]
	v_mul_f64 v[80:81], v[40:41], s[34:35]
	v_fma_f64 v[78:79], v[56:57], s[22:23], -v[74:75]
	v_fma_f64 v[74:75], v[56:57], s[22:23], v[74:75]
	v_fma_f64 v[84:85], v[58:59], s[22:23], v[80:81]
	v_fma_f64 v[80:81], v[58:59], s[22:23], -v[80:81]
	v_add_f64 v[78:79], v[78:79], v[86:87]
	v_add_f64 v[74:75], v[74:75], v[82:83]
	v_mul_f64 v[82:83], v[42:43], s[38:39]
	v_add_f64 v[80:81], v[80:81], v[88:89]
	v_mul_f64 v[88:89], v[40:41], s[38:39]
	v_add_f64 v[84:85], v[84:85], v[92:93]
	v_fma_f64 v[86:87], v[56:57], s[16:17], -v[82:83]
	v_fma_f64 v[82:83], v[56:57], s[16:17], v[82:83]
	v_fma_f64 v[92:93], v[58:59], s[16:17], v[88:89]
	v_fma_f64 v[88:89], v[58:59], s[16:17], -v[88:89]
	v_add_f64 v[86:87], v[86:87], v[94:95]
	v_add_f64 v[82:83], v[82:83], v[90:91]
	v_mul_f64 v[90:91], v[42:43], s[48:49]
	v_add_f64 v[88:89], v[88:89], v[96:97]
	v_mul_f64 v[96:97], v[40:41], s[48:49]
	v_add_f64 v[92:93], v[92:93], v[98:99]
	v_fma_f64 v[94:95], v[56:57], s[4:5], -v[90:91]
	v_fma_f64 v[90:91], v[56:57], s[4:5], v[90:91]
	v_fma_f64 v[98:99], v[58:59], s[4:5], v[96:97]
	v_fma_f64 v[96:97], v[58:59], s[4:5], -v[96:97]
	v_add_f64 v[94:95], v[94:95], v[102:103]
	v_add_f64 v[90:91], v[90:91], v[100:101]
	v_mul_f64 v[100:101], v[42:43], s[40:41]
	v_mul_f64 v[42:43], v[42:43], s[30:31]
	v_add_f64 v[96:97], v[96:97], v[148:149]
	v_mul_f64 v[148:149], v[40:41], s[40:41]
	v_mul_f64 v[40:41], v[40:41], s[30:31]
	v_add_f64 v[98:99], v[98:99], v[150:151]
	v_fma_f64 v[102:103], v[56:57], s[24:25], -v[100:101]
	v_fma_f64 v[100:101], v[56:57], s[24:25], v[100:101]
	v_fma_f64 v[150:151], v[58:59], s[24:25], v[148:149]
	v_fma_f64 v[148:149], v[58:59], s[24:25], -v[148:149]
	v_add_f64 v[102:103], v[102:103], v[154:155]
	v_add_f64 v[100:101], v[100:101], v[152:153]
	v_fma_f64 v[152:153], v[56:57], s[12:13], -v[42:43]
	v_fma_f64 v[42:43], v[56:57], s[12:13], v[42:43]
	v_fma_f64 v[154:155], v[58:59], s[12:13], v[40:41]
	v_fma_f64 v[40:41], v[58:59], s[12:13], -v[40:41]
	v_add_f64 v[150:151], v[150:151], v[162:163]
	v_add_f64 v[148:149], v[148:149], v[160:161]
	;; [unrolled: 1-line block ×7, first 2 shown]
	v_add_f64 v[34:35], v[34:35], -v[38:39]
	v_add_f64 v[40:41], v[40:41], v[48:49]
	v_add_f64 v[48:49], v[32:33], v[36:37]
	v_add_f64 v[32:33], v[32:33], -v[36:37]
	v_add_f64 v[154:155], v[154:155], v[166:167]
	v_mul_f64 v[36:37], v[34:35], s[34:35]
	v_mul_f64 v[58:59], v[32:33], s[30:31]
	v_fma_f64 v[38:39], v[48:49], s[22:23], -v[36:37]
	v_fma_f64 v[36:37], v[48:49], s[22:23], v[36:37]
	v_add_f64 v[38:39], v[38:39], v[46:47]
	v_mul_f64 v[46:47], v[32:33], s[34:35]
	v_add_f64 v[36:37], v[36:37], v[44:45]
	v_fma_f64 v[56:57], v[50:51], s[22:23], v[46:47]
	v_fma_f64 v[44:45], v[50:51], s[22:23], -v[46:47]
	v_mul_f64 v[46:47], v[34:35], s[30:31]
	v_add_f64 v[56:57], v[56:57], v[64:65]
	v_add_f64 v[44:45], v[44:45], v[52:53]
	v_fma_f64 v[52:53], v[48:49], s[12:13], -v[46:47]
	v_fma_f64 v[46:47], v[48:49], s[12:13], v[46:47]
	v_mul_f64 v[64:65], v[32:33], s[46:47]
	v_add_f64 v[52:53], v[52:53], v[60:61]
	v_fma_f64 v[60:61], v[50:51], s[12:13], v[58:59]
	v_add_f64 v[46:47], v[46:47], v[54:55]
	v_fma_f64 v[54:55], v[50:51], s[12:13], -v[58:59]
	v_mul_f64 v[58:59], v[34:35], s[46:47]
	v_add_f64 v[60:61], v[60:61], v[68:69]
	v_fma_f64 v[68:69], v[50:51], s[16:17], v[64:65]
	v_add_f64 v[54:55], v[54:55], v[62:63]
	v_fma_f64 v[62:63], v[48:49], s[16:17], -v[58:59]
	v_fma_f64 v[58:59], v[48:49], s[16:17], v[58:59]
	v_fma_f64 v[64:65], v[50:51], s[16:17], -v[64:65]
	v_add_f64 v[68:69], v[68:69], v[76:77]
	v_add_f64 v[62:63], v[62:63], v[70:71]
	;; [unrolled: 1-line block ×3, first 2 shown]
	v_mul_f64 v[66:67], v[34:35], s[56:57]
	v_add_f64 v[64:65], v[64:65], v[72:73]
	v_mul_f64 v[72:73], v[32:33], s[56:57]
	v_fma_f64 v[70:71], v[48:49], s[18:19], -v[66:67]
	v_fma_f64 v[66:67], v[48:49], s[18:19], v[66:67]
	v_fma_f64 v[76:77], v[50:51], s[18:19], v[72:73]
	v_fma_f64 v[72:73], v[50:51], s[18:19], -v[72:73]
	v_add_f64 v[70:71], v[70:71], v[78:79]
	v_add_f64 v[66:67], v[66:67], v[74:75]
	v_mul_f64 v[74:75], v[34:35], s[44:45]
	v_add_f64 v[72:73], v[72:73], v[80:81]
	v_mul_f64 v[80:81], v[32:33], s[44:45]
	v_add_f64 v[76:77], v[76:77], v[84:85]
	v_fma_f64 v[78:79], v[48:49], s[2:3], -v[74:75]
	v_fma_f64 v[74:75], v[48:49], s[2:3], v[74:75]
	v_fma_f64 v[84:85], v[50:51], s[2:3], v[80:81]
	v_fma_f64 v[80:81], v[50:51], s[2:3], -v[80:81]
	v_add_f64 v[78:79], v[78:79], v[86:87]
	v_add_f64 v[74:75], v[74:75], v[82:83]
	v_mul_f64 v[82:83], v[34:35], s[40:41]
	v_add_f64 v[80:81], v[80:81], v[88:89]
	v_mul_f64 v[88:89], v[32:33], s[40:41]
	v_add_f64 v[84:85], v[84:85], v[92:93]
	v_fma_f64 v[86:87], v[48:49], s[24:25], -v[82:83]
	v_fma_f64 v[82:83], v[48:49], s[24:25], v[82:83]
	v_fma_f64 v[92:93], v[50:51], s[24:25], v[88:89]
	v_fma_f64 v[88:89], v[50:51], s[24:25], -v[88:89]
	v_add_f64 v[86:87], v[86:87], v[94:95]
	v_add_f64 v[82:83], v[82:83], v[90:91]
	v_mul_f64 v[90:91], v[34:35], s[36:37]
	v_mul_f64 v[34:35], v[34:35], s[26:27]
	v_add_f64 v[88:89], v[88:89], v[96:97]
	v_mul_f64 v[96:97], v[32:33], s[36:37]
	v_mul_f64 v[32:33], v[32:33], s[26:27]
	v_add_f64 v[92:93], v[92:93], v[98:99]
	v_fma_f64 v[94:95], v[48:49], s[4:5], -v[90:91]
	v_fma_f64 v[90:91], v[48:49], s[4:5], v[90:91]
	v_fma_f64 v[98:99], v[50:51], s[4:5], v[96:97]
	v_fma_f64 v[96:97], v[50:51], s[4:5], -v[96:97]
	v_add_f64 v[94:95], v[94:95], v[102:103]
	v_add_f64 v[90:91], v[90:91], v[100:101]
	v_fma_f64 v[100:101], v[48:49], s[20:21], -v[34:35]
	v_fma_f64 v[34:35], v[48:49], s[20:21], v[34:35]
	v_fma_f64 v[102:103], v[50:51], s[20:21], v[32:33]
	v_fma_f64 v[32:33], v[50:51], s[20:21], -v[32:33]
	v_add_f64 v[98:99], v[98:99], v[150:151]
	v_add_f64 v[96:97], v[96:97], v[148:149]
	v_mul_f64 v[148:149], v[188:189], s[50:51]
	v_mul_f64 v[150:151], v[184:185], s[50:51]
	v_add_f64 v[100:101], v[100:101], v[152:153]
	v_add_f64 v[34:35], v[34:35], v[42:43]
	;; [unrolled: 1-line block ×3, first 2 shown]
	v_add_f64 v[26:27], v[26:27], -v[30:31]
	v_add_f64 v[32:33], v[32:33], v[40:41]
	v_add_f64 v[40:41], v[24:25], v[28:29]
	v_add_f64 v[24:25], v[24:25], -v[28:29]
	v_add_f64 v[102:103], v[102:103], v[154:155]
	v_mul_f64 v[152:153], v[188:189], s[44:45]
	v_mul_f64 v[154:155], v[184:185], s[44:45]
	;; [unrolled: 1-line block ×3, first 2 shown]
	v_fma_f64 v[30:31], v[40:41], s[24:25], -v[28:29]
	v_fma_f64 v[28:29], v[40:41], s[24:25], v[28:29]
	v_add_f64 v[48:49], v[30:31], v[38:39]
	v_mul_f64 v[30:31], v[24:25], s[40:41]
	v_add_f64 v[36:37], v[28:29], v[36:37]
	v_fma_f64 v[38:39], v[42:43], s[24:25], v[30:31]
	v_fma_f64 v[28:29], v[42:43], s[24:25], -v[30:31]
	v_add_f64 v[50:51], v[38:39], v[56:57]
	v_add_f64 v[38:39], v[28:29], v[44:45]
	v_mul_f64 v[28:29], v[26:27], s[42:43]
	buffer_store_dword v48, off, s[60:63], 0 offset:576 ; 4-byte Folded Spill
	buffer_store_dword v49, off, s[60:63], 0 offset:580 ; 4-byte Folded Spill
	;; [unrolled: 1-line block ×8, first 2 shown]
	v_fma_f64 v[30:31], v[40:41], s[2:3], -v[28:29]
	v_fma_f64 v[28:29], v[40:41], s[2:3], v[28:29]
	v_add_f64 v[48:49], v[30:31], v[52:53]
	v_mul_f64 v[30:31], v[24:25], s[42:43]
	v_fma_f64 v[36:37], v[42:43], s[2:3], v[30:31]
	v_add_f64 v[50:51], v[36:37], v[60:61]
	v_add_f64 v[36:37], v[28:29], v[46:47]
	v_fma_f64 v[28:29], v[42:43], s[2:3], -v[30:31]
	buffer_store_dword v48, off, s[60:63], 0 offset:608 ; 4-byte Folded Spill
	buffer_store_dword v49, off, s[60:63], 0 offset:612 ; 4-byte Folded Spill
	;; [unrolled: 1-line block ×4, first 2 shown]
	v_add_f64 v[38:39], v[28:29], v[54:55]
	v_mul_f64 v[28:29], v[26:27], s[34:35]
	buffer_store_dword v36, off, s[60:63], 0 offset:512 ; 4-byte Folded Spill
	buffer_store_dword v37, off, s[60:63], 0 offset:516 ; 4-byte Folded Spill
	buffer_store_dword v38, off, s[60:63], 0 offset:520 ; 4-byte Folded Spill
	buffer_store_dword v39, off, s[60:63], 0 offset:524 ; 4-byte Folded Spill
	v_fma_f64 v[30:31], v[40:41], s[22:23], -v[28:29]
	v_fma_f64 v[28:29], v[40:41], s[22:23], v[28:29]
	v_add_f64 v[44:45], v[30:31], v[62:63]
	v_mul_f64 v[30:31], v[24:25], s[34:35]
	v_fma_f64 v[36:37], v[42:43], s[22:23], v[30:31]
	v_add_f64 v[46:47], v[36:37], v[68:69]
	v_add_f64 v[36:37], v[28:29], v[58:59]
	v_fma_f64 v[28:29], v[42:43], s[22:23], -v[30:31]
	buffer_store_dword v44, off, s[60:63], 0 offset:624 ; 4-byte Folded Spill
	buffer_store_dword v45, off, s[60:63], 0 offset:628 ; 4-byte Folded Spill
	;; [unrolled: 1-line block ×4, first 2 shown]
	v_add_f64 v[68:69], v[108:109], -v[4:5]
	v_add_f64 v[38:39], v[28:29], v[64:65]
	v_mul_f64 v[28:29], v[26:27], s[36:37]
	buffer_store_dword v36, off, s[60:63], 0 offset:528 ; 4-byte Folded Spill
	buffer_store_dword v37, off, s[60:63], 0 offset:532 ; 4-byte Folded Spill
	buffer_store_dword v38, off, s[60:63], 0 offset:536 ; 4-byte Folded Spill
	buffer_store_dword v39, off, s[60:63], 0 offset:540 ; 4-byte Folded Spill
	v_fma_f64 v[30:31], v[40:41], s[4:5], -v[28:29]
	v_fma_f64 v[28:29], v[40:41], s[4:5], v[28:29]
	v_add_f64 v[44:45], v[30:31], v[70:71]
	v_mul_f64 v[30:31], v[24:25], s[36:37]
	v_add_f64 v[70:71], v[110:111], -v[6:7]
	v_fma_f64 v[36:37], v[42:43], s[4:5], v[30:31]
	v_add_f64 v[46:47], v[36:37], v[76:77]
	v_add_f64 v[36:37], v[28:29], v[66:67]
	v_fma_f64 v[28:29], v[42:43], s[4:5], -v[30:31]
	buffer_store_dword v44, off, s[60:63], 0 offset:640 ; 4-byte Folded Spill
	buffer_store_dword v45, off, s[60:63], 0 offset:644 ; 4-byte Folded Spill
	buffer_store_dword v46, off, s[60:63], 0 offset:648 ; 4-byte Folded Spill
	buffer_store_dword v47, off, s[60:63], 0 offset:652 ; 4-byte Folded Spill
	v_add_f64 v[38:39], v[28:29], v[72:73]
	v_mul_f64 v[28:29], v[26:27], s[28:29]
	buffer_store_dword v36, off, s[60:63], 0 offset:544 ; 4-byte Folded Spill
	buffer_store_dword v37, off, s[60:63], 0 offset:548 ; 4-byte Folded Spill
	;; [unrolled: 1-line block ×4, first 2 shown]
	v_fma_f64 v[30:31], v[40:41], s[18:19], -v[28:29]
	v_fma_f64 v[28:29], v[40:41], s[18:19], v[28:29]
	v_mul_f64 v[72:73], v[70:71], s[48:49]
	v_add_f64 v[44:45], v[30:31], v[78:79]
	v_mul_f64 v[30:31], v[24:25], s[28:29]
	v_fma_f64 v[36:37], v[42:43], s[18:19], v[30:31]
	v_add_f64 v[46:47], v[36:37], v[84:85]
	v_add_f64 v[36:37], v[28:29], v[74:75]
	v_fma_f64 v[28:29], v[42:43], s[18:19], -v[30:31]
	buffer_store_dword v44, off, s[60:63], 0 offset:672 ; 4-byte Folded Spill
	buffer_store_dword v45, off, s[60:63], 0 offset:676 ; 4-byte Folded Spill
	buffer_store_dword v46, off, s[60:63], 0 offset:680 ; 4-byte Folded Spill
	buffer_store_dword v47, off, s[60:63], 0 offset:684 ; 4-byte Folded Spill
	v_mul_f64 v[74:75], v[68:69], s[48:49]
	v_add_f64 v[38:39], v[28:29], v[80:81]
	v_mul_f64 v[28:29], v[26:27], s[30:31]
	buffer_store_dword v36, off, s[60:63], 0 offset:560 ; 4-byte Folded Spill
	buffer_store_dword v37, off, s[60:63], 0 offset:564 ; 4-byte Folded Spill
	;; [unrolled: 1-line block ×4, first 2 shown]
	v_fma_f64 v[30:31], v[40:41], s[12:13], -v[28:29]
	v_fma_f64 v[28:29], v[40:41], s[12:13], v[28:29]
	v_add_f64 v[44:45], v[30:31], v[86:87]
	v_mul_f64 v[30:31], v[24:25], s[30:31]
	v_fma_f64 v[36:37], v[42:43], s[12:13], v[30:31]
	v_add_f64 v[46:47], v[36:37], v[92:93]
	v_add_f64 v[36:37], v[28:29], v[82:83]
	v_fma_f64 v[28:29], v[42:43], s[12:13], -v[30:31]
	buffer_store_dword v44, off, s[60:63], 0 offset:688 ; 4-byte Folded Spill
	buffer_store_dword v45, off, s[60:63], 0 offset:692 ; 4-byte Folded Spill
	;; [unrolled: 1-line block ×4, first 2 shown]
	v_add_f64 v[38:39], v[28:29], v[88:89]
	v_mul_f64 v[28:29], v[26:27], s[26:27]
	buffer_store_dword v36, off, s[60:63], 0 offset:592 ; 4-byte Folded Spill
	buffer_store_dword v37, off, s[60:63], 0 offset:596 ; 4-byte Folded Spill
	;; [unrolled: 1-line block ×4, first 2 shown]
	v_fma_f64 v[30:31], v[40:41], s[20:21], -v[28:29]
	v_fma_f64 v[28:29], v[40:41], s[20:21], v[28:29]
	v_mul_f64 v[26:27], v[26:27], s[38:39]
	v_add_f64 v[44:45], v[30:31], v[94:95]
	v_mul_f64 v[30:31], v[24:25], s[26:27]
	v_mul_f64 v[24:25], v[24:25], s[38:39]
	v_fma_f64 v[36:37], v[42:43], s[20:21], v[30:31]
	v_add_f64 v[46:47], v[36:37], v[98:99]
	v_add_f64 v[36:37], v[28:29], v[90:91]
	v_fma_f64 v[28:29], v[42:43], s[20:21], -v[30:31]
	buffer_store_dword v44, off, s[60:63], 0 offset:704 ; 4-byte Folded Spill
	buffer_store_dword v45, off, s[60:63], 0 offset:708 ; 4-byte Folded Spill
	buffer_store_dword v46, off, s[60:63], 0 offset:712 ; 4-byte Folded Spill
	buffer_store_dword v47, off, s[60:63], 0 offset:716 ; 4-byte Folded Spill
	v_add_f64 v[30:31], v[106:107], -v[2:3]
	v_add_f64 v[38:39], v[28:29], v[96:97]
	v_fma_f64 v[28:29], v[40:41], s[16:17], -v[26:27]
	buffer_store_dword v36, off, s[60:63], 0 offset:656 ; 4-byte Folded Spill
	buffer_store_dword v37, off, s[60:63], 0 offset:660 ; 4-byte Folded Spill
	;; [unrolled: 1-line block ×4, first 2 shown]
	v_add_f64 v[36:37], v[28:29], v[100:101]
	v_fma_f64 v[28:29], v[42:43], s[16:17], v[24:25]
	v_fma_f64 v[26:27], v[40:41], s[16:17], v[26:27]
	v_fma_f64 v[24:25], v[42:43], s[16:17], -v[24:25]
	v_mul_f64 v[40:41], v[30:31], s[52:53]
	v_mul_f64 v[44:45], v[30:31], s[46:47]
	;; [unrolled: 1-line block ×7, first 2 shown]
	v_add_f64 v[38:39], v[28:29], v[102:103]
	v_add_f64 v[26:27], v[26:27], v[34:35]
	;; [unrolled: 1-line block ×3, first 2 shown]
	buffer_store_dword v36, off, s[60:63], 0 offset:736 ; 4-byte Folded Spill
	buffer_store_dword v37, off, s[60:63], 0 offset:740 ; 4-byte Folded Spill
	buffer_store_dword v38, off, s[60:63], 0 offset:744 ; 4-byte Folded Spill
	buffer_store_dword v39, off, s[60:63], 0 offset:748 ; 4-byte Folded Spill
	buffer_store_dword v26, off, s[60:63], 0 offset:720 ; 4-byte Folded Spill
	buffer_store_dword v27, off, s[60:63], 0 offset:724 ; 4-byte Folded Spill
	buffer_store_dword v28, off, s[60:63], 0 offset:728 ; 4-byte Folded Spill
	buffer_store_dword v29, off, s[60:63], 0 offset:732 ; 4-byte Folded Spill
	v_add_f64 v[28:29], v[104:105], -v[0:1]
	v_mul_f64 v[32:33], v[30:31], s[44:45]
	buffer_store_dword v32, off, s[60:63], 0 offset:752 ; 4-byte Folded Spill
	buffer_store_dword v33, off, s[60:63], 0 offset:756 ; 4-byte Folded Spill
	v_mul_f64 v[34:35], v[28:29], s[44:45]
	v_mul_f64 v[36:37], v[30:31], s[48:49]
	;; [unrolled: 1-line block ×8, first 2 shown]
	buffer_store_dword v34, off, s[60:63], 0 offset:768 ; 4-byte Folded Spill
	buffer_store_dword v35, off, s[60:63], 0 offset:772 ; 4-byte Folded Spill
	;; [unrolled: 1-line block ×30, first 2 shown]
	v_add_f64 v[26:27], v[106:107], v[2:3]
	v_mul_f64 v[28:29], v[28:29], s[40:41]
	v_add_f64 v[24:25], v[104:105], v[0:1]
	v_mul_f64 v[30:31], v[30:31], s[40:41]
	v_fma_f64 v[62:63], v[26:27], s[24:25], v[28:29]
	v_fma_f64 v[28:29], v[26:27], s[24:25], -v[28:29]
	v_fma_f64 v[60:61], v[24:25], s[24:25], -v[30:31]
	v_fma_f64 v[30:31], v[24:25], s[24:25], v[30:31]
	v_add_f64 v[62:63], v[22:23], v[62:63]
	v_add_f64 v[66:67], v[22:23], v[28:29]
	;; [unrolled: 1-line block ×6, first 2 shown]
	v_fma_f64 v[32:33], v[24:25], s[2:3], v[32:33]
	v_add_f64 v[32:33], v[20:21], v[32:33]
	v_fma_f64 v[34:35], v[26:27], s[2:3], -v[34:35]
	v_fma_f64 v[36:37], v[24:25], s[4:5], v[36:37]
	v_fma_f64 v[38:39], v[26:27], s[4:5], -v[38:39]
	v_fma_f64 v[40:41], v[24:25], s[12:13], v[40:41]
	;; [unrolled: 2-line block ×7, first 2 shown]
	v_add_f64 v[34:35], v[22:23], v[34:35]
	v_add_f64 v[36:37], v[20:21], v[36:37]
	;; [unrolled: 1-line block ×14, first 2 shown]
	v_fma_f64 v[72:73], v[30:31], s[4:5], -v[74:75]
	v_mul_f64 v[74:75], v[68:69], s[46:47]
	v_add_f64 v[34:35], v[72:73], v[34:35]
	v_mul_f64 v[72:73], v[70:71], s[46:47]
	buffer_store_dword v72, off, s[60:63], 0 offset:1004 ; 4-byte Folded Spill
	buffer_store_dword v73, off, s[60:63], 0 offset:1008 ; 4-byte Folded Spill
	buffer_store_dword v74, off, s[60:63], 0 offset:1012 ; 4-byte Folded Spill
	buffer_store_dword v75, off, s[60:63], 0 offset:1016 ; 4-byte Folded Spill
	v_fma_f64 v[72:73], v[28:29], s[16:17], v[72:73]
	v_add_f64 v[36:37], v[72:73], v[36:37]
	v_fma_f64 v[72:73], v[30:31], s[16:17], -v[74:75]
	v_mul_f64 v[74:75], v[68:69], s[28:29]
	v_add_f64 v[38:39], v[72:73], v[38:39]
	v_mul_f64 v[72:73], v[70:71], s[28:29]
	buffer_store_dword v72, off, s[60:63], 0 offset:1020 ; 4-byte Folded Spill
	buffer_store_dword v73, off, s[60:63], 0 offset:1024 ; 4-byte Folded Spill
	buffer_store_dword v74, off, s[60:63], 0 offset:1028 ; 4-byte Folded Spill
	buffer_store_dword v75, off, s[60:63], 0 offset:1032 ; 4-byte Folded Spill
	v_fma_f64 v[72:73], v[28:29], s[18:19], v[72:73]
	v_add_f64 v[40:41], v[72:73], v[40:41]
	;; [unrolled: 10-line block ×5, first 2 shown]
	v_fma_f64 v[72:73], v[30:31], s[20:21], -v[74:75]
	v_mul_f64 v[74:75], v[68:69], s[30:31]
	v_mul_f64 v[68:69], v[68:69], s[42:43]
	v_add_f64 v[54:55], v[72:73], v[54:55]
	v_mul_f64 v[72:73], v[70:71], s[30:31]
	buffer_store_dword v72, off, s[60:63], 0 offset:1084 ; 4-byte Folded Spill
	buffer_store_dword v73, off, s[60:63], 0 offset:1088 ; 4-byte Folded Spill
	;; [unrolled: 1-line block ×4, first 2 shown]
	v_mul_f64 v[70:71], v[70:71], s[42:43]
	v_fma_f64 v[72:73], v[28:29], s[12:13], v[72:73]
	v_add_f64 v[56:57], v[72:73], v[56:57]
	v_fma_f64 v[72:73], v[30:31], s[12:13], -v[74:75]
	v_add_f64 v[74:75], v[114:115], -v[10:11]
	v_add_f64 v[58:59], v[72:73], v[58:59]
	v_fma_f64 v[72:73], v[28:29], s[2:3], -v[70:71]
	v_mul_f64 v[76:77], v[74:75], s[52:53]
	buffer_store_dword v76, off, s[60:63], 0 offset:1100 ; 4-byte Folded Spill
	buffer_store_dword v77, off, s[60:63], 0 offset:1104 ; 4-byte Folded Spill
	v_add_f64 v[60:61], v[72:73], v[60:61]
	v_fma_f64 v[72:73], v[30:31], s[2:3], v[68:69]
	v_fma_f64 v[68:69], v[30:31], s[2:3], -v[68:69]
	v_fma_f64 v[70:71], v[28:29], s[2:3], v[70:71]
	v_add_f64 v[62:63], v[72:73], v[62:63]
	v_add_f64 v[72:73], v[112:113], -v[8:9]
	v_add_f64 v[66:67], v[68:69], v[66:67]
	v_add_f64 v[68:69], v[112:113], v[8:9]
	;; [unrolled: 1-line block ×4, first 2 shown]
	v_mul_f64 v[78:79], v[72:73], s[52:53]
	buffer_store_dword v78, off, s[60:63], 0 offset:1108 ; 4-byte Folded Spill
	buffer_store_dword v79, off, s[60:63], 0 offset:1112 ; 4-byte Folded Spill
	v_mul_f64 v[254:255], v[72:73], s[58:59]
	v_fma_f64 v[76:77], v[68:69], s[12:13], v[76:77]
	v_add_f64 v[32:33], v[76:77], v[32:33]
	v_fma_f64 v[76:77], v[70:71], s[12:13], -v[78:79]
	v_mul_f64 v[78:79], v[72:73], s[28:29]
	v_add_f64 v[34:35], v[76:77], v[34:35]
	v_mul_f64 v[76:77], v[74:75], s[28:29]
	buffer_store_dword v76, off, s[60:63], 0 offset:1124 ; 4-byte Folded Spill
	buffer_store_dword v77, off, s[60:63], 0 offset:1128 ; 4-byte Folded Spill
	;; [unrolled: 1-line block ×4, first 2 shown]
	v_fma_f64 v[76:77], v[68:69], s[18:19], v[76:77]
	v_add_f64 v[36:37], v[76:77], v[36:37]
	v_fma_f64 v[76:77], v[70:71], s[18:19], -v[78:79]
	v_mul_f64 v[78:79], v[72:73], s[50:51]
	v_add_f64 v[38:39], v[76:77], v[38:39]
	v_mul_f64 v[76:77], v[74:75], s[58:59]
	buffer_store_dword v76, off, s[60:63], 0 offset:1116 ; 4-byte Folded Spill
	buffer_store_dword v77, off, s[60:63], 0 offset:1120 ; 4-byte Folded Spill
	v_fma_f64 v[76:77], v[68:69], s[24:25], v[76:77]
	v_add_f64 v[40:41], v[76:77], v[40:41]
	v_fma_f64 v[76:77], v[70:71], s[24:25], -v[254:255]
	v_add_f64 v[42:43], v[76:77], v[42:43]
	v_mul_f64 v[76:77], v[74:75], s[50:51]
	buffer_store_dword v76, off, s[60:63], 0 offset:1140 ; 4-byte Folded Spill
	buffer_store_dword v77, off, s[60:63], 0 offset:1144 ; 4-byte Folded Spill
	buffer_store_dword v78, off, s[60:63], 0 offset:1148 ; 4-byte Folded Spill
	buffer_store_dword v79, off, s[60:63], 0 offset:1152 ; 4-byte Folded Spill
	v_fma_f64 v[76:77], v[68:69], s[20:21], v[76:77]
	v_add_f64 v[44:45], v[76:77], v[44:45]
	v_fma_f64 v[76:77], v[70:71], s[20:21], -v[78:79]
	v_mul_f64 v[78:79], v[72:73], s[36:37]
	v_add_f64 v[46:47], v[76:77], v[46:47]
	v_mul_f64 v[76:77], v[74:75], s[36:37]
	buffer_store_dword v76, off, s[60:63], 0 offset:1156 ; 4-byte Folded Spill
	buffer_store_dword v77, off, s[60:63], 0 offset:1160 ; 4-byte Folded Spill
	buffer_store_dword v78, off, s[60:63], 0 offset:1164 ; 4-byte Folded Spill
	buffer_store_dword v79, off, s[60:63], 0 offset:1168 ; 4-byte Folded Spill
	v_fma_f64 v[76:77], v[68:69], s[4:5], v[76:77]
	v_add_f64 v[48:49], v[76:77], v[48:49]
	v_fma_f64 v[76:77], v[70:71], s[4:5], -v[78:79]
	v_mul_f64 v[78:79], v[72:73], s[44:45]
	;; [unrolled: 10-line block ×3, first 2 shown]
	v_mul_f64 v[72:73], v[72:73], s[34:35]
	v_add_f64 v[54:55], v[76:77], v[54:55]
	v_mul_f64 v[76:77], v[74:75], s[46:47]
	buffer_store_dword v76, off, s[60:63], 0 offset:1188 ; 4-byte Folded Spill
	buffer_store_dword v77, off, s[60:63], 0 offset:1192 ; 4-byte Folded Spill
	;; [unrolled: 1-line block ×4, first 2 shown]
	v_mul_f64 v[74:75], v[74:75], s[34:35]
	v_fma_f64 v[76:77], v[68:69], s[16:17], v[76:77]
	v_add_f64 v[56:57], v[76:77], v[56:57]
	v_fma_f64 v[76:77], v[70:71], s[16:17], -v[78:79]
	v_add_f64 v[58:59], v[76:77], v[58:59]
	v_fma_f64 v[76:77], v[68:69], s[22:23], -v[74:75]
	v_fma_f64 v[74:75], v[68:69], s[22:23], v[74:75]
	v_add_f64 v[60:61], v[76:77], v[60:61]
	v_fma_f64 v[76:77], v[70:71], s[22:23], v[72:73]
	v_add_f64 v[64:65], v[74:75], v[64:65]
	v_fma_f64 v[72:73], v[70:71], s[22:23], -v[72:73]
	v_add_f64 v[74:75], v[122:123], -v[14:15]
	v_add_f64 v[62:63], v[76:77], v[62:63]
	v_add_f64 v[66:67], v[72:73], v[66:67]
	v_add_f64 v[72:73], v[120:121], -v[12:13]
	v_mul_f64 v[76:77], v[74:75], s[46:47]
	buffer_store_dword v76, off, s[60:63], 0 offset:1204 ; 4-byte Folded Spill
	buffer_store_dword v77, off, s[60:63], 0 offset:1208 ; 4-byte Folded Spill
	v_mul_f64 v[78:79], v[72:73], s[46:47]
	buffer_store_dword v78, off, s[60:63], 0 offset:1212 ; 4-byte Folded Spill
	buffer_store_dword v79, off, s[60:63], 0 offset:1216 ; 4-byte Folded Spill
	v_mul_f64 v[100:101], v[74:75], s[50:51]
	v_mul_f64 v[102:103], v[72:73], s[50:51]
	;; [unrolled: 1-line block ×10, first 2 shown]
	v_fma_f64 v[76:77], v[220:221], s[16:17], v[76:77]
	v_add_f64 v[32:33], v[76:77], v[32:33]
	v_fma_f64 v[76:77], v[222:223], s[16:17], -v[78:79]
	v_mul_f64 v[78:79], v[72:73], s[40:41]
	v_mul_f64 v[72:73], v[72:73], s[36:37]
	v_add_f64 v[34:35], v[76:77], v[34:35]
	v_mul_f64 v[76:77], v[74:75], s[40:41]
	buffer_store_dword v76, off, s[60:63], 0 offset:1228 ; 4-byte Folded Spill
	buffer_store_dword v77, off, s[60:63], 0 offset:1232 ; 4-byte Folded Spill
	;; [unrolled: 1-line block ×4, first 2 shown]
	v_mul_f64 v[74:75], v[74:75], s[36:37]
	v_fma_f64 v[76:77], v[220:221], s[24:25], v[76:77]
	v_add_f64 v[36:37], v[76:77], v[36:37]
	v_fma_f64 v[76:77], v[222:223], s[24:25], -v[78:79]
	v_add_f64 v[38:39], v[76:77], v[38:39]
	v_fma_f64 v[76:77], v[220:221], s[20:21], v[100:101]
	v_add_f64 v[40:41], v[76:77], v[40:41]
	v_fma_f64 v[76:77], v[222:223], s[20:21], -v[102:103]
	v_add_f64 v[42:43], v[76:77], v[42:43]
	;; [unrolled: 4-line block ×6, first 2 shown]
	v_fma_f64 v[76:77], v[220:221], s[4:5], -v[74:75]
	v_fma_f64 v[74:75], v[220:221], s[4:5], v[74:75]
	v_add_f64 v[60:61], v[76:77], v[60:61]
	v_fma_f64 v[76:77], v[222:223], s[4:5], v[72:73]
	v_add_f64 v[64:65], v[74:75], v[64:65]
	v_fma_f64 v[72:73], v[222:223], s[4:5], -v[72:73]
	v_add_f64 v[74:75], v[126:127], -v[18:19]
	v_add_f64 v[62:63], v[76:77], v[62:63]
	v_add_f64 v[66:67], v[72:73], v[66:67]
	v_add_f64 v[72:73], v[124:125], -v[16:17]
	v_mul_f64 v[180:181], v[74:75], s[26:27]
	v_mul_f64 v[186:187], v[74:75], s[54:55]
	;; [unrolled: 1-line block ×4, first 2 shown]
	v_fma_f64 v[76:77], v[160:161], s[20:21], v[180:181]
	v_mul_f64 v[190:191], v[72:73], s[54:55]
	v_mul_f64 v[214:215], v[72:73], s[36:37]
	v_add_f64 v[76:77], v[76:77], v[32:33]
	v_fma_f64 v[32:33], v[162:163], s[20:21], -v[182:183]
	v_add_f64 v[78:79], v[32:33], v[34:35]
	v_fma_f64 v[32:33], v[160:161], s[22:23], v[186:187]
	v_mul_f64 v[34:35], v[72:73], s[52:53]
	v_add_f64 v[80:81], v[32:33], v[36:37]
	v_fma_f64 v[32:33], v[162:163], s[22:23], -v[190:191]
	v_add_f64 v[82:83], v[32:33], v[38:39]
	v_fma_f64 v[32:33], v[160:161], s[4:5], v[196:197]
	v_mul_f64 v[38:39], v[72:73], s[40:41]
	v_add_f64 v[84:85], v[32:33], v[40:41]
	v_fma_f64 v[32:33], v[162:163], s[4:5], -v[214:215]
	v_add_f64 v[86:87], v[32:33], v[42:43]
	v_mul_f64 v[32:33], v[74:75], s[52:53]
	v_mul_f64 v[42:43], v[72:73], s[38:39]
	v_fma_f64 v[36:37], v[160:161], s[12:13], v[32:33]
	v_add_f64 v[88:89], v[36:37], v[44:45]
	v_fma_f64 v[36:37], v[162:163], s[12:13], -v[34:35]
	v_add_f64 v[90:91], v[36:37], v[46:47]
	v_mul_f64 v[36:37], v[74:75], s[40:41]
	v_mul_f64 v[46:47], v[72:73], s[44:45]
	v_fma_f64 v[40:41], v[160:161], s[24:25], v[36:37]
	v_add_f64 v[48:49], v[40:41], v[48:49]
	v_fma_f64 v[40:41], v[162:163], s[24:25], -v[38:39]
	v_add_f64 v[50:51], v[40:41], v[50:51]
	v_mul_f64 v[40:41], v[74:75], s[38:39]
	v_fma_f64 v[44:45], v[160:161], s[16:17], v[40:41]
	v_add_f64 v[52:53], v[44:45], v[52:53]
	v_fma_f64 v[44:45], v[162:163], s[16:17], -v[42:43]
	v_add_f64 v[54:55], v[44:45], v[54:55]
	v_mul_f64 v[44:45], v[74:75], s[44:45]
	v_mul_f64 v[74:75], v[74:75], s[28:29]
	v_fma_f64 v[92:93], v[160:161], s[2:3], v[44:45]
	v_add_f64 v[56:57], v[92:93], v[56:57]
	v_fma_f64 v[92:93], v[162:163], s[2:3], -v[46:47]
	v_add_f64 v[58:59], v[92:93], v[58:59]
	v_fma_f64 v[92:93], v[160:161], s[18:19], -v[74:75]
	v_add_f64 v[92:93], v[92:93], v[60:61]
	v_mul_f64 v[60:61], v[72:73], s[28:29]
	v_fma_f64 v[72:73], v[162:163], s[18:19], v[60:61]
	v_fma_f64 v[60:61], v[162:163], s[18:19], -v[60:61]
	v_add_f64 v[72:73], v[72:73], v[62:63]
	v_fma_f64 v[62:63], v[160:161], s[18:19], v[74:75]
	v_add_f64 v[94:95], v[60:61], v[66:67]
	v_mul_f64 v[60:61], v[188:189], s[28:29]
	buffer_store_dword v60, off, s[60:63], 0 offset:1220 ; 4-byte Folded Spill
	buffer_store_dword v61, off, s[60:63], 0 offset:1224 ; 4-byte Folded Spill
	v_add_f64 v[74:75], v[62:63], v[64:65]
	v_mul_f64 v[62:63], v[184:185], s[28:29]
	buffer_store_dword v62, off, s[60:63], 0 offset:1236 ; 4-byte Folded Spill
	buffer_store_dword v63, off, s[60:63], 0 offset:1240 ; 4-byte Folded Spill
	v_mul_f64 v[66:67], v[184:185], s[40:41]
	buffer_store_dword v158, off, s[60:63], 0 ; 4-byte Folded Spill
	v_fma_f64 v[60:61], v[210:211], s[18:19], v[60:61]
	v_add_f64 v[76:77], v[60:61], v[76:77]
	v_fma_f64 v[60:61], v[212:213], s[18:19], -v[62:63]
	v_mul_f64 v[62:63], v[184:185], s[48:49]
	v_add_f64 v[78:79], v[60:61], v[78:79]
	v_fma_f64 v[60:61], v[210:211], s[20:21], v[148:149]
	v_add_f64 v[80:81], v[60:61], v[80:81]
	v_fma_f64 v[60:61], v[212:213], s[20:21], -v[150:151]
	v_add_f64 v[82:83], v[60:61], v[82:83]
	v_fma_f64 v[60:61], v[210:211], s[2:3], v[152:153]
	v_add_f64 v[84:85], v[60:61], v[84:85]
	v_fma_f64 v[60:61], v[212:213], s[2:3], -v[154:155]
	;; [unrolled: 4-line block ×4, first 2 shown]
	v_add_f64 v[50:51], v[60:61], v[50:51]
	v_mul_f64 v[60:61], v[188:189], s[48:49]
	v_fma_f64 v[64:65], v[210:211], s[4:5], v[60:61]
	v_add_f64 v[216:217], v[64:65], v[52:53]
	v_fma_f64 v[52:53], v[212:213], s[4:5], -v[62:63]
	v_mul_f64 v[64:65], v[188:189], s[40:41]
	v_add_f64 v[218:219], v[52:53], v[54:55]
	v_fma_f64 v[52:53], v[210:211], s[24:25], v[64:65]
	v_add_f64 v[56:57], v[52:53], v[56:57]
	v_fma_f64 v[52:53], v[212:213], s[24:25], -v[66:67]
	v_add_f64 v[58:59], v[52:53], v[58:59]
	v_mul_f64 v[52:53], v[188:189], s[30:31]
	v_mul_f64 v[188:189], v[238:239], s[34:35]
	v_fma_f64 v[54:55], v[210:211], s[12:13], -v[52:53]
	v_fma_f64 v[52:53], v[210:211], s[12:13], v[52:53]
	v_add_f64 v[224:225], v[54:55], v[92:93]
	v_mul_f64 v[54:55], v[184:185], s[30:31]
	v_add_f64 v[74:75], v[52:53], v[74:75]
	v_mul_f64 v[184:185], v[226:227], s[34:35]
	v_fma_f64 v[52:53], v[212:213], s[12:13], -v[54:55]
	v_fma_f64 v[92:93], v[212:213], s[12:13], v[54:55]
	v_add_f64 v[54:55], v[134:135], v[146:147]
	v_add_f64 v[228:229], v[52:53], v[94:95]
	;; [unrolled: 1-line block ×4, first 2 shown]
	v_fma_f64 v[92:93], v[52:53], s[22:23], v[184:185]
	v_add_f64 v[158:159], v[92:93], v[76:77]
	v_fma_f64 v[76:77], v[54:55], s[22:23], -v[188:189]
	v_add_f64 v[248:249], v[76:77], v[78:79]
	v_fma_f64 v[76:77], v[52:53], s[12:13], v[192:193]
	v_add_f64 v[78:79], v[138:139], v[142:143]
	v_add_f64 v[250:251], v[76:77], v[80:81]
	v_fma_f64 v[76:77], v[54:55], s[12:13], -v[194:195]
	v_add_f64 v[252:253], v[76:77], v[82:83]
	v_fma_f64 v[76:77], v[52:53], s[16:17], v[198:199]
	v_add_f64 v[82:83], v[76:77], v[84:85]
	v_fma_f64 v[76:77], v[54:55], s[16:17], -v[200:201]
	v_mul_f64 v[84:85], v[226:227], s[40:41]
	v_add_f64 v[80:81], v[76:77], v[86:87]
	v_fma_f64 v[76:77], v[52:53], s[18:19], v[202:203]
	v_mul_f64 v[86:87], v[238:239], s[40:41]
	v_add_f64 v[94:95], v[76:77], v[88:89]
	v_fma_f64 v[76:77], v[54:55], s[18:19], -v[204:205]
	v_mul_f64 v[88:89], v[226:227], s[36:37]
	v_add_f64 v[92:93], v[76:77], v[90:91]
	v_fma_f64 v[76:77], v[52:53], s[2:3], v[206:207]
	v_mul_f64 v[90:91], v[238:239], s[36:37]
	v_add_f64 v[236:237], v[76:77], v[48:49]
	v_fma_f64 v[48:49], v[54:55], s[2:3], -v[208:209]
	v_add_f64 v[76:77], v[136:137], v[140:141]
	v_add_f64 v[234:235], v[48:49], v[50:51]
	v_fma_f64 v[48:49], v[52:53], s[24:25], v[84:85]
	v_add_f64 v[242:243], v[48:49], v[216:217]
	v_fma_f64 v[48:49], v[54:55], s[24:25], -v[86:87]
	v_add_f64 v[240:241], v[48:49], v[218:219]
	v_fma_f64 v[48:49], v[52:53], s[4:5], v[88:89]
	v_add_f64 v[232:233], v[48:49], v[56:57]
	v_fma_f64 v[48:49], v[54:55], s[4:5], -v[90:91]
	v_add_f64 v[230:231], v[48:49], v[58:59]
	v_mul_f64 v[48:49], v[226:227], s[26:27]
	v_fma_f64 v[50:51], v[52:53], s[20:21], -v[48:49]
	v_fma_f64 v[48:49], v[52:53], s[20:21], v[48:49]
	v_add_f64 v[226:227], v[50:51], v[224:225]
	v_mul_f64 v[50:51], v[238:239], s[26:27]
	v_add_f64 v[218:219], v[48:49], v[74:75]
	v_add_f64 v[238:239], v[138:139], -v[142:143]
	v_fma_f64 v[48:49], v[54:55], s[20:21], -v[50:51]
	v_fma_f64 v[56:57], v[54:55], s[20:21], v[50:51]
	v_add_f64 v[216:217], v[48:49], v[228:229]
	v_add_f64 v[228:229], v[136:137], -v[140:141]
	v_mul_f64 v[48:49], v[238:239], s[40:41]
	v_add_f64 v[224:225], v[56:57], v[72:73]
	v_mul_f64 v[50:51], v[228:229], s[40:41]
	v_fma_f64 v[56:57], v[76:77], s[24:25], v[48:49]
	v_mul_f64 v[58:59], v[228:229], s[42:43]
	v_add_f64 v[72:73], v[56:57], v[158:159]
	v_fma_f64 v[56:57], v[78:79], s[24:25], -v[50:51]
	v_add_f64 v[74:75], v[56:57], v[248:249]
	v_mul_f64 v[56:57], v[238:239], s[42:43]
	buffer_store_dword v72, off, s[60:63], 0 offset:8 ; 4-byte Folded Spill
	buffer_store_dword v73, off, s[60:63], 0 offset:12 ; 4-byte Folded Spill
	;; [unrolled: 1-line block ×4, first 2 shown]
	v_fma_f64 v[72:73], v[76:77], s[2:3], v[56:57]
	v_mul_f64 v[74:75], v[228:229], s[34:35]
	v_add_f64 v[248:249], v[72:73], v[250:251]
	v_fma_f64 v[72:73], v[78:79], s[2:3], -v[58:59]
	v_add_f64 v[250:251], v[72:73], v[252:253]
	v_mul_f64 v[72:73], v[238:239], s[34:35]
	buffer_store_dword v248, off, s[60:63], 0 offset:24 ; 4-byte Folded Spill
	buffer_store_dword v249, off, s[60:63], 0 offset:28 ; 4-byte Folded Spill
	buffer_store_dword v250, off, s[60:63], 0 offset:32 ; 4-byte Folded Spill
	buffer_store_dword v251, off, s[60:63], 0 offset:36 ; 4-byte Folded Spill
	v_fma_f64 v[158:159], v[76:77], s[22:23], v[72:73]
	v_add_f64 v[248:249], v[158:159], v[82:83]
	v_fma_f64 v[82:83], v[78:79], s[22:23], -v[74:75]
	v_add_f64 v[250:251], v[82:83], v[80:81]
	v_mul_f64 v[80:81], v[238:239], s[36:37]
	v_mul_f64 v[82:83], v[228:229], s[36:37]
	buffer_store_dword v248, off, s[60:63], 0 offset:40 ; 4-byte Folded Spill
	buffer_store_dword v249, off, s[60:63], 0 offset:44 ; 4-byte Folded Spill
	buffer_store_dword v250, off, s[60:63], 0 offset:48 ; 4-byte Folded Spill
	buffer_store_dword v251, off, s[60:63], 0 offset:52 ; 4-byte Folded Spill
	v_fma_f64 v[158:159], v[76:77], s[4:5], v[80:81]
	v_add_f64 v[248:249], v[158:159], v[94:95]
	v_fma_f64 v[94:95], v[78:79], s[4:5], -v[82:83]
	v_add_f64 v[250:251], v[94:95], v[92:93]
	v_mul_f64 v[92:93], v[238:239], s[28:29]
	v_mul_f64 v[94:95], v[228:229], s[28:29]
	buffer_store_dword v248, off, s[60:63], 0 offset:56 ; 4-byte Folded Spill
	buffer_store_dword v249, off, s[60:63], 0 offset:60 ; 4-byte Folded Spill
	;; [unrolled: 1-line block ×4, first 2 shown]
	v_fma_f64 v[158:159], v[76:77], s[18:19], v[92:93]
	v_add_f64 v[248:249], v[158:159], v[236:237]
	v_fma_f64 v[158:159], v[78:79], s[18:19], -v[94:95]
	v_mul_f64 v[236:237], v[228:229], s[30:31]
	v_add_f64 v[250:251], v[158:159], v[234:235]
	v_mul_f64 v[234:235], v[238:239], s[30:31]
	buffer_store_dword v248, off, s[60:63], 0 offset:72 ; 4-byte Folded Spill
	buffer_store_dword v249, off, s[60:63], 0 offset:76 ; 4-byte Folded Spill
	;; [unrolled: 1-line block ×4, first 2 shown]
	v_fma_f64 v[158:159], v[76:77], s[12:13], v[234:235]
	v_add_f64 v[248:249], v[158:159], v[242:243]
	v_fma_f64 v[158:159], v[78:79], s[12:13], -v[236:237]
	v_mul_f64 v[242:243], v[228:229], s[26:27]
	v_add_f64 v[250:251], v[158:159], v[240:241]
	v_mul_f64 v[240:241], v[238:239], s[26:27]
	buffer_store_dword v248, off, s[60:63], 0 offset:88 ; 4-byte Folded Spill
	buffer_store_dword v249, off, s[60:63], 0 offset:92 ; 4-byte Folded Spill
	;; [unrolled: 1-line block ×4, first 2 shown]
	v_fma_f64 v[158:159], v[76:77], s[20:21], v[240:241]
	v_add_f64 v[248:249], v[158:159], v[232:233]
	v_fma_f64 v[158:159], v[78:79], s[20:21], -v[242:243]
	v_add_f64 v[250:251], v[158:159], v[230:231]
	v_mul_f64 v[158:159], v[238:239], s[38:39]
	buffer_store_dword v248, off, s[60:63], 0 offset:104 ; 4-byte Folded Spill
	buffer_store_dword v249, off, s[60:63], 0 offset:108 ; 4-byte Folded Spill
	;; [unrolled: 1-line block ×4, first 2 shown]
	v_fma_f64 v[230:231], v[76:77], s[16:17], -v[158:159]
	v_fma_f64 v[158:159], v[76:77], s[16:17], v[158:159]
	v_add_f64 v[230:231], v[230:231], v[226:227]
	v_mul_f64 v[226:227], v[228:229], s[38:39]
	v_fma_f64 v[228:229], v[78:79], s[16:17], v[226:227]
	v_add_f64 v[232:233], v[228:229], v[224:225]
	v_add_f64 v[224:225], v[158:159], v[218:219]
	v_fma_f64 v[158:159], v[78:79], s[16:17], -v[226:227]
	buffer_store_dword v230, off, s[60:63], 0 offset:120 ; 4-byte Folded Spill
	buffer_store_dword v231, off, s[60:63], 0 offset:124 ; 4-byte Folded Spill
	;; [unrolled: 1-line block ×4, first 2 shown]
	v_add_f64 v[226:227], v[158:159], v[216:217]
	buffer_store_dword v224, off, s[60:63], 0 offset:136 ; 4-byte Folded Spill
	buffer_store_dword v225, off, s[60:63], 0 offset:140 ; 4-byte Folded Spill
	buffer_store_dword v226, off, s[60:63], 0 offset:144 ; 4-byte Folded Spill
	buffer_store_dword v227, off, s[60:63], 0 offset:148 ; 4-byte Folded Spill
	s_clause 0x1
	buffer_load_dword v225, off, s[60:63], 0 offset:464
	buffer_load_dword v159, off, s[60:63], 0
	s_waitcnt vmcnt(0)
	s_waitcnt_vscnt null, 0x0
	s_barrier
	buffer_gl0_inv
	s_clause 0x4
	buffer_load_dword v252, off, s[60:63], 0 offset:4
	buffer_load_dword v216, off, s[60:63], 0 offset:480
	;; [unrolled: 1-line block ×5, first 2 shown]
	v_mul_lo_u16 v158, v159, 17
	v_and_b32_e32 v158, 0xffff, v158
	s_waitcnt vmcnt(4)
	v_lshl_add_u32 v158, v158, 4, v252
	s_waitcnt vmcnt(0)
	ds_write_b128 v158, v[216:219]
	s_clause 0x3
	buffer_load_dword v216, off, s[60:63], 0 offset:576
	buffer_load_dword v217, off, s[60:63], 0 offset:580
	buffer_load_dword v218, off, s[60:63], 0 offset:584
	buffer_load_dword v219, off, s[60:63], 0 offset:588
	s_waitcnt vmcnt(0)
	ds_write_b128 v158, v[216:219] offset:16
	s_clause 0x3
	buffer_load_dword v216, off, s[60:63], 0 offset:608
	buffer_load_dword v217, off, s[60:63], 0 offset:612
	buffer_load_dword v218, off, s[60:63], 0 offset:616
	buffer_load_dword v219, off, s[60:63], 0 offset:620
	s_waitcnt vmcnt(0)
	ds_write_b128 v158, v[216:219] offset:32
	;; [unrolled: 7-line block ×16, first 2 shown]
	v_mul_u32_u24_e32 v216, 17, v225
	buffer_store_dword v216, off, s[60:63], 0 offset:808 ; 4-byte Folded Spill
	s_and_saveexec_b32 s26, vcc_lo
	s_cbranch_execz .LBB0_7
; %bb.6:
	v_add_f64 v[106:107], v[22:23], v[106:107]
	v_add_f64 v[104:105], v[20:21], v[104:105]
	v_mov_b32_e32 v253, v225
	v_add_f64 v[106:107], v[106:107], v[110:111]
	v_add_f64 v[104:105], v[104:105], v[108:109]
	s_clause 0x1
	buffer_load_dword v110, off, s[60:63], 0 offset:972
	buffer_load_dword v111, off, s[60:63], 0 offset:976
	v_mul_f64 v[108:109], v[26:27], s[22:23]
	v_add_f64 v[106:107], v[106:107], v[114:115]
	v_add_f64 v[104:105], v[104:105], v[112:113]
	s_clause 0x3
	buffer_load_dword v112, off, s[60:63], 0 offset:956
	buffer_load_dword v113, off, s[60:63], 0 offset:960
	buffer_load_dword v114, off, s[60:63], 0 offset:940
	buffer_load_dword v115, off, s[60:63], 0 offset:944
	v_add_f64 v[106:107], v[106:107], v[122:123]
	v_add_f64 v[104:105], v[104:105], v[120:121]
	s_clause 0x3
	buffer_load_dword v120, off, s[60:63], 0 offset:924
	buffer_load_dword v121, off, s[60:63], 0 offset:928
	buffer_load_dword v122, off, s[60:63], 0 offset:908
	buffer_load_dword v123, off, s[60:63], 0 offset:912
	;; [unrolled: 7-line block ×5, first 2 shown]
	v_add_f64 v[106:107], v[106:107], v[138:139]
	v_add_f64 v[104:105], v[104:105], v[136:137]
	s_clause 0x1
	buffer_load_dword v136, off, s[60:63], 0 offset:784
	buffer_load_dword v137, off, s[60:63], 0 offset:788
	v_add_f64 v[106:107], v[106:107], v[142:143]
	v_add_f64 v[104:105], v[104:105], v[140:141]
	;; [unrolled: 1-line block ×14, first 2 shown]
	s_waitcnt vmcnt(22)
	v_add_f64 v[108:109], v[110:111], v[108:109]
	v_mul_f64 v[110:111], v[24:25], s[22:23]
	v_add_f64 v[108:109], v[22:23], v[108:109]
	s_waitcnt vmcnt(20)
	v_add_f64 v[110:111], v[110:111], -v[112:113]
	v_mul_f64 v[112:113], v[26:27], s[18:19]
	v_add_f64 v[110:111], v[20:21], v[110:111]
	s_waitcnt vmcnt(18)
	v_add_f64 v[112:113], v[114:115], v[112:113]
	v_mul_f64 v[114:115], v[24:25], s[18:19]
	v_add_f64 v[112:113], v[22:23], v[112:113]
	s_waitcnt vmcnt(16)
	v_add_f64 v[114:115], v[114:115], -v[120:121]
	v_mul_f64 v[120:121], v[26:27], s[20:21]
	v_add_f64 v[114:115], v[20:21], v[114:115]
	;; [unrolled: 8-line block ×4, first 2 shown]
	s_waitcnt vmcnt(6)
	v_add_f64 v[128:129], v[130:131], v[128:129]
	v_mul_f64 v[130:131], v[24:25], s[12:13]
	v_add_f64 v[128:129], v[22:23], v[128:129]
	s_waitcnt vmcnt(4)
	v_add_f64 v[130:131], v[130:131], -v[132:133]
	v_mul_f64 v[132:133], v[26:27], s[4:5]
	v_mul_f64 v[26:27], v[26:27], s[2:3]
	v_add_f64 v[130:131], v[20:21], v[130:131]
	s_waitcnt vmcnt(2)
	v_add_f64 v[132:133], v[134:135], v[132:133]
	v_mul_f64 v[134:135], v[24:25], s[4:5]
	v_mul_f64 v[24:25], v[24:25], s[2:3]
	v_add_f64 v[132:133], v[22:23], v[132:133]
	s_waitcnt vmcnt(0)
	v_add_f64 v[134:135], v[134:135], -v[136:137]
	s_clause 0x1
	buffer_load_dword v136, off, s[60:63], 0 offset:768
	buffer_load_dword v137, off, s[60:63], 0 offset:772
	v_add_f64 v[134:135], v[20:21], v[134:135]
	s_waitcnt vmcnt(0)
	v_add_f64 v[26:27], v[136:137], v[26:27]
	s_clause 0x1
	buffer_load_dword v136, off, s[60:63], 0 offset:752
	buffer_load_dword v137, off, s[60:63], 0 offset:756
	s_waitcnt vmcnt(0)
	v_add_f64 v[24:25], v[24:25], -v[136:137]
	v_add_f64 v[136:137], v[22:23], v[26:27]
	v_mul_f64 v[26:27], v[210:211], s[24:25]
	v_add_f64 v[138:139], v[20:21], v[24:25]
	s_clause 0x1
	buffer_load_dword v24, off, s[60:63], 0 offset:1196
	buffer_load_dword v25, off, s[60:63], 0 offset:1200
	v_mul_f64 v[20:21], v[78:79], s[20:21]
	v_add_f64 v[64:65], v[26:27], -v[64:65]
	v_mul_f64 v[26:27], v[160:161], s[2:3]
	v_add_f64 v[22:23], v[242:243], v[20:21]
	v_mul_f64 v[20:21], v[54:55], s[4:5]
	v_add_f64 v[90:91], v[90:91], v[20:21]
	;; [unrolled: 2-line block ×4, first 2 shown]
	v_mul_f64 v[20:21], v[222:223], s[18:19]
	v_mul_f64 v[46:47], v[210:211], s[4:5]
	v_add_f64 v[116:117], v[178:179], v[20:21]
	v_mul_f64 v[20:21], v[70:71], s[16:17]
	v_add_f64 v[60:61], v[46:47], -v[60:61]
	v_mul_f64 v[46:47], v[160:161], s[16:17]
	s_waitcnt vmcnt(0)
	v_add_f64 v[118:119], v[24:25], v[20:21]
	s_clause 0x1
	buffer_load_dword v24, off, s[60:63], 0 offset:1092
	buffer_load_dword v25, off, s[60:63], 0 offset:1096
	v_mul_f64 v[20:21], v[30:31], s[12:13]
	s_waitcnt vmcnt(0)
	v_add_f64 v[140:141], v[24:25], v[20:21]
	v_mul_f64 v[24:25], v[52:53], s[4:5]
	v_mul_f64 v[20:21], v[76:77], s[20:21]
	v_add_f64 v[108:109], v[140:141], v[108:109]
	v_add_f64 v[24:25], v[24:25], -v[88:89]
	v_add_f64 v[88:89], v[26:27], -v[44:45]
	s_clause 0x1
	buffer_load_dword v44, off, s[60:63], 0 offset:1188
	buffer_load_dword v45, off, s[60:63], 0 offset:1192
	v_mul_f64 v[26:27], v[220:221], s[18:19]
	v_add_f64 v[20:21], v[20:21], -v[240:241]
	v_mul_f64 v[140:141], v[30:31], s[16:17]
	v_add_f64 v[108:109], v[118:119], v[108:109]
	v_mul_f64 v[118:119], v[28:29], s[16:17]
	v_add_f64 v[142:143], v[26:27], -v[176:177]
	v_mul_f64 v[26:27], v[68:69], s[16:17]
	v_add_f64 v[108:109], v[116:117], v[108:109]
	v_add_f64 v[106:107], v[106:107], v[108:109]
	;; [unrolled: 1-line block ×3, first 2 shown]
	s_waitcnt vmcnt(0)
	v_add_f64 v[144:145], v[26:27], -v[44:45]
	s_clause 0x1
	buffer_load_dword v44, off, s[60:63], 0 offset:1084
	buffer_load_dword v45, off, s[60:63], 0 offset:1088
	v_mul_f64 v[26:27], v[28:29], s[12:13]
	s_waitcnt vmcnt(0)
	v_add_f64 v[146:147], v[26:27], -v[44:45]
	v_mul_f64 v[44:45], v[54:55], s[24:25]
	v_mul_f64 v[26:27], v[78:79], s[12:13]
	v_add_f64 v[110:111], v[146:147], v[110:111]
	v_add_f64 v[176:177], v[86:87], v[44:45]
	v_mul_f64 v[44:45], v[212:213], s[4:5]
	v_add_f64 v[26:27], v[236:237], v[26:27]
	v_add_f64 v[110:111], v[144:145], v[110:111]
	;; [unrolled: 1-line block ×3, first 2 shown]
	v_mul_f64 v[44:45], v[162:163], s[16:17]
	v_add_f64 v[110:111], v[142:143], v[110:111]
	v_mul_f64 v[142:143], v[212:213], s[22:23]
	v_add_f64 v[178:179], v[42:43], v[44:45]
	s_clause 0x1
	buffer_load_dword v44, off, s[60:63], 0 offset:1180
	buffer_load_dword v45, off, s[60:63], 0 offset:1184
	v_mul_f64 v[42:43], v[222:223], s[22:23]
	v_add_f64 v[108:109], v[88:89], v[110:111]
	v_add_f64 v[174:175], v[174:175], v[42:43]
	v_mul_f64 v[42:43], v[70:71], s[2:3]
	s_waitcnt vmcnt(0)
	v_add_f64 v[224:225], v[44:45], v[42:43]
	s_clause 0x1
	buffer_load_dword v44, off, s[60:63], 0 offset:1076
	buffer_load_dword v45, off, s[60:63], 0 offset:1080
	v_mul_f64 v[42:43], v[30:31], s[20:21]
	s_waitcnt vmcnt(0)
	v_add_f64 v[226:227], v[44:45], v[42:43]
	v_mul_f64 v[44:45], v[52:53], s[24:25]
	v_mul_f64 v[42:43], v[76:77], s[12:13]
	v_add_f64 v[112:113], v[226:227], v[112:113]
	v_add_f64 v[44:45], v[44:45], -v[84:85]
	v_add_f64 v[84:85], v[46:47], -v[40:41]
	s_clause 0x1
	buffer_load_dword v46, off, s[60:63], 0 offset:1172
	buffer_load_dword v47, off, s[60:63], 0 offset:1176
	v_mul_f64 v[40:41], v[220:221], s[22:23]
	v_add_f64 v[42:43], v[42:43], -v[234:235]
	v_add_f64 v[112:113], v[224:225], v[112:113]
	v_mov_b32_e32 v225, v253
	v_add_f64 v[172:173], v[40:41], -v[172:173]
	v_mul_f64 v[40:41], v[68:69], s[2:3]
	v_add_f64 v[112:113], v[174:175], v[112:113]
	v_add_f64 v[88:89], v[178:179], v[112:113]
	s_waitcnt vmcnt(0)
	v_add_f64 v[228:229], v[40:41], -v[46:47]
	s_clause 0x1
	buffer_load_dword v46, off, s[60:63], 0 offset:1068
	buffer_load_dword v47, off, s[60:63], 0 offset:1072
	v_mul_f64 v[40:41], v[28:29], s[20:21]
	s_waitcnt vmcnt(0)
	v_add_f64 v[230:231], v[40:41], -v[46:47]
	s_clause 0x1
	buffer_load_dword v46, off, s[60:63], 0 offset:1164
	buffer_load_dword v47, off, s[60:63], 0 offset:1168
	v_mul_f64 v[40:41], v[162:163], s[24:25]
	v_add_f64 v[114:115], v[230:231], v[114:115]
	v_add_f64 v[38:39], v[38:39], v[40:41]
	v_mul_f64 v[40:41], v[222:223], s[12:13]
	v_add_f64 v[114:115], v[228:229], v[114:115]
	v_add_f64 v[170:171], v[170:171], v[40:41]
	;; [unrolled: 3-line block ×3, first 2 shown]
	v_add_f64 v[114:115], v[86:87], v[88:89]
	v_add_f64 v[60:61], v[60:61], v[110:111]
	v_mul_f64 v[110:111], v[212:213], s[18:19]
	v_add_f64 v[44:45], v[44:45], v[60:61]
	s_waitcnt vmcnt(0)
	v_add_f64 v[232:233], v[46:47], v[40:41]
	s_clause 0x3
	buffer_load_dword v46, off, s[60:63], 0 offset:1060
	buffer_load_dword v47, off, s[60:63], 0 offset:1064
	;; [unrolled: 1-line block ×4, first 2 shown]
	v_mul_f64 v[40:41], v[30:31], s[22:23]
	s_waitcnt vmcnt(2)
	v_add_f64 v[234:235], v[46:47], v[40:41]
	v_mul_f64 v[40:41], v[160:161], s[24:25]
	v_mul_f64 v[46:47], v[68:69], s[4:5]
	v_add_f64 v[120:121], v[234:235], v[120:121]
	v_add_f64 v[36:37], v[40:41], -v[36:37]
	v_mul_f64 v[40:41], v[220:221], s[12:13]
	v_add_f64 v[120:121], v[232:233], v[120:121]
	v_add_f64 v[40:41], v[40:41], -v[168:169]
	s_waitcnt vmcnt(0)
	v_add_f64 v[168:169], v[46:47], -v[62:63]
	s_clause 0x1
	buffer_load_dword v62, off, s[60:63], 0 offset:1052
	buffer_load_dword v63, off, s[60:63], 0 offset:1056
	v_mul_f64 v[46:47], v[28:29], s[22:23]
	s_waitcnt vmcnt(0)
	v_add_f64 v[236:237], v[46:47], -v[62:63]
	s_clause 0x1
	buffer_load_dword v62, off, s[60:63], 0 offset:1148
	buffer_load_dword v63, off, s[60:63], 0 offset:1152
	v_mul_f64 v[46:47], v[162:163], s[12:13]
	v_add_f64 v[34:35], v[34:35], v[46:47]
	v_mul_f64 v[46:47], v[222:223], s[2:3]
	v_add_f64 v[166:167], v[166:167], v[46:47]
	v_mul_f64 v[46:47], v[70:71], s[20:21]
	s_waitcnt vmcnt(0)
	v_add_f64 v[238:239], v[62:63], v[46:47]
	s_clause 0x3
	buffer_load_dword v62, off, s[60:63], 0 offset:1044
	buffer_load_dword v63, off, s[60:63], 0 offset:1048
	;; [unrolled: 1-line block ×4, first 2 shown]
	v_mul_f64 v[46:47], v[30:31], s[24:25]
	s_waitcnt vmcnt(2)
	v_add_f64 v[240:241], v[62:63], v[46:47]
	v_mul_f64 v[46:47], v[160:161], s[12:13]
	v_add_f64 v[124:125], v[240:241], v[124:125]
	v_add_f64 v[32:33], v[46:47], -v[32:33]
	v_mul_f64 v[46:47], v[220:221], s[2:3]
	v_add_f64 v[124:125], v[238:239], v[124:125]
	v_add_f64 v[62:63], v[46:47], -v[164:165]
	v_mul_f64 v[46:47], v[68:69], s[20:21]
	s_waitcnt vmcnt(0)
	v_add_f64 v[164:165], v[46:47], -v[66:67]
	s_clause 0x1
	buffer_load_dword v66, off, s[60:63], 0 offset:1036
	buffer_load_dword v67, off, s[60:63], 0 offset:1040
	v_mul_f64 v[46:47], v[28:29], s[24:25]
	s_clause 0x3
	buffer_load_dword v248, off, s[60:63], 0 offset:1028
	buffer_load_dword v249, off, s[60:63], 0 offset:1032
	;; [unrolled: 1-line block ×4, first 2 shown]
	s_waitcnt vmcnt(4)
	v_add_f64 v[242:243], v[46:47], -v[66:67]
	v_mul_f64 v[66:67], v[222:223], s[20:21]
	v_mul_f64 v[46:47], v[162:163], s[4:5]
	v_add_f64 v[102:103], v[102:103], v[66:67]
	v_mul_f64 v[66:67], v[70:71], s[24:25]
	v_add_f64 v[46:47], v[214:215], v[46:47]
	v_add_f64 v[214:215], v[254:255], v[66:67]
	s_clause 0x7
	buffer_load_dword v254, off, s[60:63], 0 offset:1132
	buffer_load_dword v255, off, s[60:63], 0 offset:1136
	;; [unrolled: 1-line block ×8, first 2 shown]
	v_mul_f64 v[66:67], v[30:31], s[18:19]
	v_mul_f64 v[30:31], v[30:31], s[4:5]
	s_clause 0x1
	buffer_load_dword v84, off, s[60:63], 0 offset:988
	buffer_load_dword v85, off, s[60:63], 0 offset:992
	s_waitcnt vmcnt(12)
	v_add_f64 v[248:249], v[248:249], v[66:67]
	v_mul_f64 v[66:67], v[220:221], s[20:21]
	v_add_f64 v[128:129], v[248:249], v[128:129]
	v_add_f64 v[66:67], v[66:67], -v[100:101]
	v_mul_f64 v[100:101], v[28:29], s[18:19]
	v_mul_f64 v[28:29], v[28:29], s[4:5]
	s_waitcnt vmcnt(10)
	v_add_f64 v[100:101], v[100:101], -v[250:251]
	v_mul_f64 v[250:251], v[70:71], s[18:19]
	v_add_f64 v[100:101], v[100:101], v[130:131]
	v_mul_f64 v[130:131], v[52:53], s[18:19]
	s_waitcnt vmcnt(8)
	v_add_f64 v[250:251], v[254:255], v[250:251]
	s_waitcnt vmcnt(6)
	v_add_f64 v[140:141], v[146:147], v[140:141]
	s_waitcnt vmcnt(4)
	v_add_f64 v[118:119], v[118:119], -v[144:145]
	s_waitcnt vmcnt(2)
	v_add_f64 v[116:117], v[116:117], v[30:31]
	v_add_f64 v[30:31], v[236:237], v[122:123]
	;; [unrolled: 1-line block ×3, first 2 shown]
	s_waitcnt vmcnt(0)
	v_add_f64 v[112:113], v[28:29], -v[84:85]
	v_add_f64 v[84:85], v[170:171], v[120:121]
	v_mul_f64 v[120:121], v[68:69], s[18:19]
	v_add_f64 v[126:127], v[214:215], v[128:129]
	v_mul_f64 v[128:129], v[68:69], s[24:25]
	v_add_f64 v[28:29], v[64:65], v[108:109]
	v_add_f64 v[64:65], v[176:177], v[114:115]
	v_mul_f64 v[170:171], v[160:161], s[4:5]
	v_mul_f64 v[108:109], v[222:223], s[16:17]
	;; [unrolled: 1-line block ×5, first 2 shown]
	v_add_f64 v[106:107], v[140:141], v[132:133]
	v_add_f64 v[176:177], v[118:119], v[134:135]
	;; [unrolled: 1-line block ×5, first 2 shown]
	s_clause 0x1
	buffer_load_dword v90, off, s[60:63], 0 offset:1124
	buffer_load_dword v91, off, s[60:63], 0 offset:1128
	v_add_f64 v[88:89], v[164:165], v[122:123]
	v_mul_f64 v[122:123], v[70:71], s[12:13]
	v_add_f64 v[70:71], v[166:167], v[124:125]
	v_mul_f64 v[124:125], v[68:69], s[12:13]
	v_mul_f64 v[164:165], v[160:161], s[20:21]
	;; [unrolled: 1-line block ×7, first 2 shown]
	v_add_f64 v[68:69], v[102:103], v[126:127]
	v_mul_f64 v[126:127], v[210:211], s[2:3]
	v_add_f64 v[112:113], v[112:113], v[138:139]
	v_mul_f64 v[166:167], v[162:163], s[20:21]
	v_mul_f64 v[162:163], v[162:163], s[22:23]
	;; [unrolled: 1-line block ×4, first 2 shown]
	v_add_f64 v[170:171], v[170:171], -v[196:197]
	v_mul_f64 v[138:139], v[54:55], s[18:19]
	v_add_f64 v[40:41], v[40:41], v[86:87]
	v_add_f64 v[38:39], v[38:39], v[84:85]
	v_mul_f64 v[104:105], v[54:55], s[22:23]
	v_add_f64 v[62:63], v[62:63], v[88:89]
	v_add_f64 v[88:89], v[96:97], v[142:143]
	;; [unrolled: 1-line block ×3, first 2 shown]
	v_add_f64 v[114:115], v[114:115], -v[148:149]
	v_add_f64 v[164:165], v[164:165], -v[180:181]
	;; [unrolled: 1-line block ×3, first 2 shown]
	v_add_f64 v[96:97], v[154:155], v[134:135]
	v_add_f64 v[86:87], v[246:247], v[160:161]
	v_mul_f64 v[118:119], v[52:53], s[16:17]
	v_add_f64 v[84:85], v[146:147], -v[244:245]
	v_add_f64 v[46:47], v[46:47], v[68:69]
	v_add_f64 v[68:69], v[126:127], -v[152:153]
	v_add_f64 v[60:61], v[24:25], v[28:29]
	v_add_f64 v[166:167], v[182:183], v[166:167]
	;; [unrolled: 1-line block ×4, first 2 shown]
	v_add_f64 v[70:71], v[136:137], -v[98:99]
	v_add_f64 v[8:9], v[26:27], v[64:65]
	v_add_f64 v[36:37], v[36:37], v[40:41]
	;; [unrolled: 1-line block ×5, first 2 shown]
	v_add_f64 v[88:89], v[130:131], -v[202:203]
	v_add_f64 v[38:39], v[86:87], v[38:39]
	v_add_f64 v[86:87], v[204:205], v[138:139]
	;; [unrolled: 1-line block ×3, first 2 shown]
	v_add_f64 v[96:97], v[118:119], -v[198:199]
	v_add_f64 v[34:35], v[86:87], v[34:35]
	s_waitcnt vmcnt(0)
	v_add_f64 v[120:121], v[120:121], -v[90:91]
	s_clause 0x1
	buffer_load_dword v90, off, s[60:63], 0 offset:1108
	buffer_load_dword v91, off, s[60:63], 0 offset:1112
	s_waitcnt vmcnt(0)
	v_add_f64 v[172:173], v[90:91], v[122:123]
	s_clause 0x1
	buffer_load_dword v90, off, s[60:63], 0 offset:1100
	buffer_load_dword v91, off, s[60:63], 0 offset:1104
	v_mul_f64 v[122:123], v[212:213], s[20:21]
	v_add_f64 v[212:213], v[250:251], v[106:107]
	v_add_f64 v[172:173], v[172:173], v[174:175]
	;; [unrolled: 1-line block ×4, first 2 shown]
	v_mul_f64 v[120:121], v[78:79], s[22:23]
	s_waitcnt vmcnt(0)
	v_add_f64 v[124:125], v[124:125], -v[90:91]
	s_clause 0x1
	buffer_load_dword v90, off, s[60:63], 0 offset:1116
	buffer_load_dword v91, off, s[60:63], 0 offset:1120
	v_add_f64 v[222:223], v[124:125], v[112:113]
	v_mul_f64 v[112:113], v[76:77], s[22:23]
	v_mul_f64 v[124:125], v[76:77], s[4:5]
	v_add_f64 v[72:73], v[112:113], -v[72:73]
	s_waitcnt vmcnt(0)
	v_add_f64 v[178:179], v[128:129], -v[90:91]
	s_clause 0x5
	buffer_load_dword v90, off, s[60:63], 0 offset:1244
	buffer_load_dword v91, off, s[60:63], 0 offset:1248
	;; [unrolled: 1-line block ×6, first 2 shown]
	v_mul_f64 v[128:129], v[54:55], s[16:17]
	v_add_f64 v[178:179], v[178:179], v[100:101]
	v_mul_f64 v[100:101], v[76:77], s[2:3]
	v_add_f64 v[128:129], v[200:201], v[128:129]
	v_add_f64 v[66:67], v[66:67], v[178:179]
	v_add_f64 v[56:57], v[100:101], -v[56:57]
	v_add_f64 v[46:47], v[128:129], v[46:47]
	v_add_f64 v[66:67], v[170:171], v[66:67]
	s_waitcnt vmcnt(4)
	v_add_f64 v[210:211], v[90:91], v[144:145]
	s_waitcnt vmcnt(2)
	v_add_f64 v[214:215], v[140:141], -v[106:107]
	s_waitcnt vmcnt(0)
	v_add_f64 v[220:221], v[116:117], v[108:109]
	s_clause 0x5
	buffer_load_dword v108, off, s[60:63], 0 offset:1204
	buffer_load_dword v109, off, s[60:63], 0 offset:1208
	;; [unrolled: 1-line block ×6, first 2 shown]
	v_mul_f64 v[144:145], v[54:55], s[2:3]
	v_mul_f64 v[90:91], v[52:53], s[22:23]
	;; [unrolled: 1-line block ×8, first 2 shown]
	v_add_f64 v[190:191], v[210:211], v[212:213]
	v_add_f64 v[174:175], v[214:215], v[174:175]
	;; [unrolled: 1-line block ×4, first 2 shown]
	v_add_f64 v[90:91], v[90:91], -v[184:185]
	v_add_f64 v[106:107], v[106:107], -v[192:193]
	v_add_f64 v[116:117], v[194:195], v[116:117]
	v_add_f64 v[62:63], v[140:141], -v[206:207]
	v_add_f64 v[50:51], v[50:51], v[54:55]
	;; [unrolled: 2-line block ×3, first 2 shown]
	v_add_f64 v[18:19], v[168:169], v[174:175]
	v_add_f64 v[38:39], v[40:41], v[38:39]
	v_add_f64 v[40:41], v[76:77], -v[92:93]
	v_add_f64 v[98:99], v[98:99], v[122:123]
	v_add_f64 v[14:15], v[114:115], v[18:19]
	;; [unrolled: 1-line block ×11, first 2 shown]
	s_waitcnt vmcnt(4)
	v_add_f64 v[176:177], v[132:133], -v[108:109]
	s_waitcnt vmcnt(2)
	v_add_f64 v[110:111], v[126:127], v[110:111]
	v_add_f64 v[126:127], v[166:167], v[172:173]
	s_waitcnt vmcnt(0)
	v_add_f64 v[102:103], v[102:103], -v[134:135]
	v_mul_f64 v[108:109], v[78:79], s[2:3]
	v_mul_f64 v[132:133], v[78:79], s[4:5]
	v_mul_f64 v[78:79], v[78:79], s[18:19]
	v_add_f64 v[176:177], v[176:177], v[222:223]
	v_add_f64 v[110:111], v[110:111], v[126:127]
	;; [unrolled: 1-line block ×10, first 2 shown]
	v_add_f64 v[68:69], v[124:125], -v[80:81]
	v_add_f64 v[32:33], v[50:51], v[54:55]
	v_add_f64 v[52:53], v[90:91], v[12:13]
	;; [unrolled: 1-line block ×11, first 2 shown]
	v_mul_u32_u24_e32 v0, 17, v225
	v_lshl_add_u32 v0, v0, 4, v252
	v_add_f64 v[30:31], v[48:49], v[52:53]
	v_add_f64 v[22:23], v[72:73], v[76:77]
	ds_write_b128 v0, v[34:37]
	ds_write_b128 v0, v[30:33] offset:16
	ds_write_b128 v0, v[26:29] offset:32
	;; [unrolled: 1-line block ×7, first 2 shown]
	s_clause 0x3
	buffer_load_dword v1, off, s[60:63], 0 offset:120
	buffer_load_dword v2, off, s[60:63], 0 offset:124
	buffer_load_dword v3, off, s[60:63], 0 offset:128
	buffer_load_dword v4, off, s[60:63], 0 offset:132
	s_waitcnt vmcnt(0)
	ds_write_b128 v0, v[1:4] offset:128
	s_clause 0x3
	buffer_load_dword v1, off, s[60:63], 0 offset:136
	buffer_load_dword v2, off, s[60:63], 0 offset:140
	buffer_load_dword v3, off, s[60:63], 0 offset:144
	buffer_load_dword v4, off, s[60:63], 0 offset:148
	s_waitcnt vmcnt(0)
	ds_write_b128 v0, v[1:4] offset:144
	;; [unrolled: 7-line block ×9, first 2 shown]
.LBB0_7:
	s_or_b32 exec_lo, exec_lo, s26
	v_lshlrev_b32_e32 v148, 6, v159
	s_waitcnt lgkmcnt(0)
	s_waitcnt_vscnt null, 0x0
	s_barrier
	buffer_gl0_inv
	ds_read_b128 v[16:19], v156
	ds_read_b128 v[52:55], v156 offset:1360
	ds_read_b128 v[56:59], v156 offset:2720
	;; [unrolled: 1-line block ×24, first 2 shown]
	s_clause 0x3
	global_load_dwordx4 v[104:107], v148, s[0:1] offset:48
	global_load_dwordx4 v[108:111], v148, s[0:1] offset:32
	;; [unrolled: 1-line block ×3, first 2 shown]
	global_load_dwordx4 v[116:119], v148, s[0:1]
	v_add_co_u32 v196, null, v159, 34
	v_add_co_u32 v216, null, v159, 51
	;; [unrolled: 1-line block ×3, first 2 shown]
	s_mov_b32 s18, 0x134454ff
	s_mov_b32 s19, 0x3fee6f0e
	;; [unrolled: 1-line block ×10, first 2 shown]
	v_mov_b32_e32 v160, v252
	s_add_u32 s2, s6, 0x1a90
	s_addc_u32 s3, s7, 0
	v_lshl_add_u32 v159, v159, 4, v160
	s_waitcnt vmcnt(0) lgkmcnt(23)
	v_mul_f64 v[76:77], v[54:55], v[118:119]
	v_fma_f64 v[142:143], v[52:53], v[116:117], -v[76:77]
	v_mul_f64 v[52:53], v[52:53], v[118:119]
	v_fma_f64 v[52:53], v[54:55], v[116:117], v[52:53]
	s_waitcnt lgkmcnt(22)
	v_mul_f64 v[54:55], v[58:59], v[114:115]
	v_fma_f64 v[140:141], v[56:57], v[112:113], -v[54:55]
	v_mul_f64 v[54:55], v[56:57], v[114:115]
	s_waitcnt lgkmcnt(17)
	v_mul_f64 v[56:57], v[74:75], v[114:115]
	v_fma_f64 v[134:135], v[58:59], v[112:113], v[54:55]
	v_mul_f64 v[54:55], v[62:63], v[110:111]
	v_fma_f64 v[144:145], v[60:61], v[108:109], -v[54:55]
	v_mul_f64 v[54:55], v[60:61], v[110:111]
	v_fma_f64 v[136:137], v[62:63], v[108:109], v[54:55]
	v_mul_f64 v[54:55], v[66:67], v[106:107]
	v_fma_f64 v[146:147], v[64:65], v[104:105], -v[54:55]
	;; [unrolled: 4-line block ×3, first 2 shown]
	v_mul_f64 v[54:55], v[68:69], v[118:119]
	v_fma_f64 v[68:69], v[72:73], v[112:113], -v[56:57]
	v_mul_f64 v[56:57], v[72:73], v[114:115]
	v_fma_f64 v[54:55], v[70:71], v[116:117], v[54:55]
	v_fma_f64 v[60:61], v[74:75], v[112:113], v[56:57]
	s_waitcnt lgkmcnt(16)
	v_mul_f64 v[56:57], v[80:81], v[110:111]
	v_fma_f64 v[72:73], v[78:79], v[108:109], -v[56:57]
	v_mul_f64 v[56:57], v[78:79], v[110:111]
	v_fma_f64 v[62:63], v[80:81], v[108:109], v[56:57]
	s_waitcnt lgkmcnt(15)
	v_mul_f64 v[56:57], v[84:85], v[106:107]
	v_fma_f64 v[124:125], v[82:83], v[104:105], -v[56:57]
	v_mul_f64 v[56:57], v[82:83], v[106:107]
	v_fma_f64 v[64:65], v[84:85], v[104:105], v[56:57]
	v_and_b32_e32 v56, 0xff, v196
	v_mul_lo_u16 v56, 0xf1, v56
	v_lshrrev_b16 v56, 12, v56
	v_mul_lo_u16 v56, v56, 17
	v_sub_nc_u16 v149, v196, v56
	v_lshlrev_b16 v56, 2, v149
	v_and_b32_e32 v56, 0xfc, v56
	v_lshlrev_b32_e32 v56, 4, v56
	s_clause 0x3
	global_load_dwordx4 v[197:200], v56, s[0:1] offset:48
	global_load_dwordx4 v[201:204], v56, s[0:1] offset:32
	;; [unrolled: 1-line block ×3, first 2 shown]
	global_load_dwordx4 v[209:212], v56, s[0:1]
	s_waitcnt vmcnt(0) lgkmcnt(13)
	v_mul_f64 v[56:57], v[88:89], v[211:212]
	v_fma_f64 v[66:67], v[86:87], v[209:210], -v[56:57]
	v_mul_f64 v[56:57], v[86:87], v[211:212]
	v_fma_f64 v[74:75], v[88:89], v[209:210], v[56:57]
	s_waitcnt lgkmcnt(12)
	v_mul_f64 v[56:57], v[92:93], v[207:208]
	v_fma_f64 v[70:71], v[90:91], v[205:206], -v[56:57]
	v_mul_f64 v[56:57], v[90:91], v[207:208]
	v_fma_f64 v[78:79], v[92:93], v[205:206], v[56:57]
	s_waitcnt lgkmcnt(11)
	v_mul_f64 v[56:57], v[96:97], v[203:204]
	v_fma_f64 v[84:85], v[94:95], v[201:202], -v[56:57]
	v_mul_f64 v[56:57], v[94:95], v[203:204]
	v_fma_f64 v[80:81], v[96:97], v[201:202], v[56:57]
	s_waitcnt lgkmcnt(10)
	v_mul_f64 v[56:57], v[100:101], v[199:200]
	v_fma_f64 v[88:89], v[98:99], v[197:198], -v[56:57]
	v_mul_f64 v[56:57], v[98:99], v[199:200]
	v_fma_f64 v[82:83], v[100:101], v[197:198], v[56:57]
	v_and_b32_e32 v56, 0xff, v216
	v_mul_lo_u16 v56, 0xf1, v56
	v_lshrrev_b16 v56, 12, v56
	v_mul_lo_u16 v56, v56, 17
	v_sub_nc_u16 v150, v216, v56
	v_lshlrev_b16 v56, 2, v150
	v_and_b32_e32 v56, 0xfc, v56
	v_lshlrev_b32_e32 v56, 4, v56
	s_clause 0x3
	global_load_dwordx4 v[217:220], v56, s[0:1] offset:48
	global_load_dwordx4 v[221:224], v56, s[0:1] offset:32
	global_load_dwordx4 v[90:93], v56, s[0:1] offset:16
	global_load_dwordx4 v[94:97], v56, s[0:1]
	s_waitcnt vmcnt(0) lgkmcnt(8)
	v_mul_f64 v[56:57], v[50:51], v[96:97]
	v_fma_f64 v[86:87], v[48:49], v[94:95], -v[56:57]
	v_mul_f64 v[48:49], v[48:49], v[96:97]
	buffer_store_dword v94, off, s[60:63], 0 offset:480 ; 4-byte Folded Spill
	buffer_store_dword v95, off, s[60:63], 0 offset:484 ; 4-byte Folded Spill
	;; [unrolled: 1-line block ×4, first 2 shown]
	v_fma_f64 v[56:57], v[50:51], v[94:95], v[48:49]
	s_waitcnt lgkmcnt(7)
	v_mul_f64 v[48:49], v[46:47], v[92:93]
	v_add_f64 v[50:51], v[72:73], -v[124:125]
	v_fma_f64 v[94:95], v[44:45], v[90:91], -v[48:49]
	v_mul_f64 v[44:45], v[44:45], v[92:93]
	buffer_store_dword v90, off, s[60:63], 0 offset:464 ; 4-byte Folded Spill
	buffer_store_dword v91, off, s[60:63], 0 offset:468 ; 4-byte Folded Spill
	;; [unrolled: 1-line block ×4, first 2 shown]
	v_fma_f64 v[58:59], v[46:47], v[90:91], v[44:45]
	s_waitcnt lgkmcnt(6)
	v_mul_f64 v[44:45], v[42:43], v[223:224]
	v_fma_f64 v[96:97], v[40:41], v[221:222], -v[44:45]
	v_mul_f64 v[40:41], v[40:41], v[223:224]
	v_fma_f64 v[90:91], v[42:43], v[221:222], v[40:41]
	s_waitcnt lgkmcnt(5)
	v_mul_f64 v[40:41], v[38:39], v[219:220]
	v_fma_f64 v[98:99], v[36:37], v[217:218], -v[40:41]
	v_mul_f64 v[36:37], v[36:37], v[219:220]
	v_fma_f64 v[92:93], v[38:39], v[217:218], v[36:37]
	v_and_b32_e32 v36, 0xff, v228
	v_mul_lo_u16 v36, 0xf1, v36
	v_lshrrev_b16 v36, 12, v36
	v_mul_lo_u16 v36, v36, 17
	v_sub_nc_u16 v151, v228, v36
	v_lshlrev_b16 v36, 2, v151
	v_and_b32_e32 v36, 0xfc, v36
	v_lshlrev_b32_e32 v36, 4, v36
	s_clause 0x3
	global_load_dwordx4 v[38:41], v36, s[0:1] offset:48
	global_load_dwordx4 v[42:45], v36, s[0:1] offset:32
	;; [unrolled: 1-line block ×3, first 2 shown]
	global_load_dwordx4 v[100:103], v36, s[0:1]
	s_waitcnt vmcnt(0) lgkmcnt(3)
	v_mul_f64 v[36:37], v[34:35], v[102:103]
	v_fma_f64 v[126:127], v[32:33], v[100:101], -v[36:37]
	v_mul_f64 v[32:33], v[32:33], v[102:103]
	buffer_store_dword v100, off, s[60:63], 0 offset:544 ; 4-byte Folded Spill
	buffer_store_dword v101, off, s[60:63], 0 offset:548 ; 4-byte Folded Spill
	;; [unrolled: 1-line block ×4, first 2 shown]
	v_add_f64 v[36:37], v[140:141], -v[144:145]
	v_fma_f64 v[100:101], v[34:35], v[100:101], v[32:33]
	s_waitcnt lgkmcnt(2)
	v_mul_f64 v[32:33], v[30:31], v[48:49]
	v_add_f64 v[34:35], v[144:145], -v[146:147]
	v_fma_f64 v[128:129], v[28:29], v[46:47], -v[32:33]
	v_mul_f64 v[28:29], v[28:29], v[48:49]
	buffer_store_dword v46, off, s[60:63], 0 offset:528 ; 4-byte Folded Spill
	buffer_store_dword v47, off, s[60:63], 0 offset:532 ; 4-byte Folded Spill
	buffer_store_dword v48, off, s[60:63], 0 offset:536 ; 4-byte Folded Spill
	buffer_store_dword v49, off, s[60:63], 0 offset:540 ; 4-byte Folded Spill
	v_add_f64 v[32:33], v[146:147], -v[144:145]
	v_add_f64 v[48:49], v[124:125], -v[72:73]
	v_fma_f64 v[102:103], v[30:31], v[46:47], v[28:29]
	s_waitcnt lgkmcnt(1)
	v_mul_f64 v[28:29], v[26:27], v[44:45]
	v_add_f64 v[30:31], v[134:135], -v[136:137]
	v_add_f64 v[46:47], v[60:61], -v[62:63]
	v_fma_f64 v[130:131], v[24:25], v[42:43], -v[28:29]
	v_mul_f64 v[24:25], v[24:25], v[44:45]
	buffer_store_dword v42, off, s[60:63], 0 offset:512 ; 4-byte Folded Spill
	buffer_store_dword v43, off, s[60:63], 0 offset:516 ; 4-byte Folded Spill
	;; [unrolled: 1-line block ×4, first 2 shown]
	v_add_f64 v[28:29], v[142:143], -v[140:141]
	v_add_f64 v[44:45], v[76:77], -v[68:69]
	v_add_f64 v[28:29], v[28:29], v[32:33]
	v_add_f64 v[32:33], v[140:141], -v[142:143]
	v_add_f64 v[48:49], v[44:45], v[48:49]
	v_add_f64 v[32:33], v[32:33], v[34:35]
	v_add_f64 v[34:35], v[142:143], -v[146:147]
	v_fma_f64 v[120:121], v[26:27], v[42:43], v[24:25]
	s_waitcnt lgkmcnt(0)
	v_mul_f64 v[24:25], v[22:23], v[40:41]
	v_add_f64 v[26:27], v[52:53], -v[138:139]
	v_add_f64 v[42:43], v[136:137], -v[138:139]
	v_fma_f64 v[132:133], v[20:21], v[38:39], -v[24:25]
	v_mul_f64 v[20:21], v[20:21], v[40:41]
	buffer_store_dword v38, off, s[60:63], 0 offset:496 ; 4-byte Folded Spill
	buffer_store_dword v39, off, s[60:63], 0 offset:500 ; 4-byte Folded Spill
	;; [unrolled: 1-line block ×4, first 2 shown]
	v_add_f64 v[40:41], v[138:139], -v[136:137]
	s_waitcnt_vscnt null, 0x0
	s_barrier
	buffer_gl0_inv
	v_fma_f64 v[122:123], v[22:23], v[38:39], v[20:21]
	v_add_f64 v[22:23], v[140:141], v[144:145]
	v_add_f64 v[20:21], v[16:17], v[142:143]
	v_add_f64 v[38:39], v[52:53], -v[134:135]
	v_fma_f64 v[22:23], v[22:23], -0.5, v[16:17]
	v_add_f64 v[20:21], v[20:21], v[140:141]
	v_add_f64 v[38:39], v[38:39], v[40:41]
	v_add_f64 v[40:41], v[134:135], -v[52:53]
	v_fma_f64 v[24:25], v[26:27], s[18:19], v[22:23]
	v_fma_f64 v[22:23], v[26:27], s[16:17], v[22:23]
	v_add_f64 v[20:21], v[20:21], v[144:145]
	v_add_f64 v[40:41], v[40:41], v[42:43]
	v_add_f64 v[42:43], v[54:55], -v[64:65]
	v_fma_f64 v[24:25], v[30:31], s[4:5], v[24:25]
	v_fma_f64 v[22:23], v[30:31], s[20:21], v[22:23]
	v_add_f64 v[20:21], v[20:21], v[146:147]
	v_fma_f64 v[24:25], v[28:29], s[12:13], v[24:25]
	v_fma_f64 v[28:29], v[28:29], s[12:13], v[22:23]
	v_add_f64 v[22:23], v[142:143], v[146:147]
	v_fma_f64 v[22:23], v[22:23], -0.5, v[16:17]
	v_fma_f64 v[16:17], v[30:31], s[16:17], v[22:23]
	v_fma_f64 v[22:23], v[30:31], s[18:19], v[22:23]
	;; [unrolled: 1-line block ×4, first 2 shown]
	v_add_f64 v[26:27], v[134:135], v[136:137]
	v_fma_f64 v[16:17], v[32:33], s[12:13], v[16:17]
	v_fma_f64 v[32:33], v[32:33], s[12:13], v[22:23]
	v_fma_f64 v[30:31], v[26:27], -0.5, v[18:19]
	v_add_f64 v[22:23], v[18:19], v[52:53]
	v_fma_f64 v[26:27], v[34:35], s[16:17], v[30:31]
	v_fma_f64 v[30:31], v[34:35], s[18:19], v[30:31]
	v_add_f64 v[22:23], v[22:23], v[134:135]
	v_fma_f64 v[26:27], v[36:37], s[20:21], v[26:27]
	v_fma_f64 v[30:31], v[36:37], s[4:5], v[30:31]
	;; [unrolled: 3-line block ×3, first 2 shown]
	v_add_f64 v[38:39], v[52:53], v[138:139]
	v_add_f64 v[22:23], v[22:23], v[138:139]
	v_fma_f64 v[38:39], v[38:39], -0.5, v[18:19]
	v_fma_f64 v[18:19], v[36:37], s[18:19], v[38:39]
	v_fma_f64 v[36:37], v[36:37], s[16:17], v[38:39]
	v_add_f64 v[38:39], v[68:69], v[72:73]
	v_fma_f64 v[18:19], v[34:35], s[20:21], v[18:19]
	v_fma_f64 v[34:35], v[34:35], s[4:5], v[36:37]
	v_fma_f64 v[38:39], v[38:39], -0.5, v[12:13]
	v_add_f64 v[36:37], v[12:13], v[76:77]
	v_fma_f64 v[18:19], v[40:41], s[12:13], v[18:19]
	v_fma_f64 v[34:35], v[40:41], s[12:13], v[34:35]
	v_fma_f64 v[40:41], v[42:43], s[18:19], v[38:39]
	v_fma_f64 v[38:39], v[42:43], s[16:17], v[38:39]
	v_add_f64 v[36:37], v[36:37], v[68:69]
	v_fma_f64 v[40:41], v[46:47], s[4:5], v[40:41]
	v_fma_f64 v[38:39], v[46:47], s[20:21], v[38:39]
	v_add_f64 v[36:37], v[36:37], v[72:73]
	v_fma_f64 v[44:45], v[48:49], s[12:13], v[40:41]
	v_fma_f64 v[40:41], v[48:49], s[12:13], v[38:39]
	v_add_f64 v[38:39], v[76:77], v[124:125]
	v_add_f64 v[48:49], v[68:69], -v[76:77]
	v_add_f64 v[76:77], v[76:77], -v[124:125]
	;; [unrolled: 1-line block ×4, first 2 shown]
	v_add_f64 v[36:37], v[36:37], v[124:125]
	v_fma_f64 v[12:13], v[38:39], -0.5, v[12:13]
	v_add_f64 v[50:51], v[48:49], v[50:51]
	v_fma_f64 v[38:39], v[46:47], s[16:17], v[12:13]
	v_fma_f64 v[12:13], v[46:47], s[18:19], v[12:13]
	v_add_f64 v[46:47], v[54:55], -v[60:61]
	v_fma_f64 v[38:39], v[42:43], s[4:5], v[38:39]
	v_fma_f64 v[12:13], v[42:43], s[20:21], v[12:13]
	v_fma_f64 v[48:49], v[50:51], s[12:13], v[38:39]
	v_fma_f64 v[52:53], v[50:51], s[12:13], v[12:13]
	v_add_f64 v[12:13], v[14:15], v[54:55]
	v_add_f64 v[50:51], v[64:65], -v[62:63]
	v_add_f64 v[12:13], v[12:13], v[60:61]
	v_add_f64 v[50:51], v[46:47], v[50:51]
	;; [unrolled: 1-line block ×5, first 2 shown]
	v_fma_f64 v[12:13], v[12:13], -0.5, v[14:15]
	v_fma_f64 v[42:43], v[76:77], s[16:17], v[12:13]
	v_fma_f64 v[12:13], v[76:77], s[18:19], v[12:13]
	;; [unrolled: 1-line block ×6, first 2 shown]
	v_add_f64 v[12:13], v[54:55], v[64:65]
	v_add_f64 v[50:51], v[60:61], -v[54:55]
	v_add_f64 v[54:55], v[62:63], -v[64:65]
	;; [unrolled: 1-line block ×3, first 2 shown]
	v_fma_f64 v[12:13], v[12:13], -0.5, v[14:15]
	v_add_f64 v[54:55], v[50:51], v[54:55]
	v_fma_f64 v[14:15], v[68:69], s[18:19], v[12:13]
	v_fma_f64 v[12:13], v[68:69], s[16:17], v[12:13]
	v_add_f64 v[68:69], v[88:89], -v[84:85]
	v_fma_f64 v[14:15], v[76:77], s[20:21], v[14:15]
	v_fma_f64 v[12:13], v[76:77], s[4:5], v[12:13]
	v_add_f64 v[76:77], v[78:79], -v[80:81]
	v_add_f64 v[64:65], v[64:65], v[68:69]
	v_fma_f64 v[50:51], v[54:55], s[12:13], v[14:15]
	v_fma_f64 v[54:55], v[54:55], s[12:13], v[12:13]
	v_add_f64 v[12:13], v[8:9], v[66:67]
	v_add_f64 v[14:15], v[74:75], -v[82:83]
	ds_write_b128 v156, v[20:23]
	ds_write_b128 v156, v[24:27] offset:272
	ds_write_b128 v156, v[16:19] offset:544
	;; [unrolled: 1-line block ×9, first 2 shown]
	v_and_b32_e32 v16, 0xff, v149
	v_lshl_add_u32 v194, v16, 4, v252
	v_and_b32_e32 v16, 0xff, v150
	v_add_f64 v[12:13], v[12:13], v[70:71]
	v_lshl_add_u32 v233, v16, 4, v252
	v_and_b32_e32 v16, 0xff, v151
	v_lshl_add_u32 v234, v16, 4, v252
	v_add_f64 v[12:13], v[12:13], v[84:85]
	v_add_f64 v[60:61], v[12:13], v[88:89]
	;; [unrolled: 1-line block ×3, first 2 shown]
	v_add_f64 v[84:85], v[70:71], -v[84:85]
	v_fma_f64 v[12:13], v[12:13], -0.5, v[8:9]
	v_fma_f64 v[62:63], v[14:15], s[18:19], v[12:13]
	v_fma_f64 v[12:13], v[14:15], s[16:17], v[12:13]
	;; [unrolled: 1-line block ×6, first 2 shown]
	v_add_f64 v[12:13], v[66:67], v[88:89]
	v_add_f64 v[62:63], v[70:71], -v[66:67]
	v_add_f64 v[70:71], v[82:83], -v[80:81]
	v_fma_f64 v[8:9], v[12:13], -0.5, v[8:9]
	v_add_f64 v[62:63], v[62:63], v[72:73]
	v_fma_f64 v[12:13], v[76:77], s[16:17], v[8:9]
	v_fma_f64 v[8:9], v[76:77], s[18:19], v[8:9]
	;; [unrolled: 1-line block ×6, first 2 shown]
	v_add_f64 v[8:9], v[10:11], v[74:75]
	v_add_f64 v[12:13], v[66:67], -v[88:89]
	v_add_f64 v[66:67], v[74:75], -v[78:79]
	v_add_f64 v[8:9], v[8:9], v[78:79]
	v_add_f64 v[66:67], v[66:67], v[70:71]
	v_add_f64 v[8:9], v[8:9], v[80:81]
	v_add_f64 v[62:63], v[8:9], v[82:83]
	v_add_f64 v[8:9], v[78:79], v[80:81]
	v_fma_f64 v[8:9], v[8:9], -0.5, v[10:11]
	v_fma_f64 v[14:15], v[12:13], s[16:17], v[8:9]
	v_fma_f64 v[8:9], v[12:13], s[18:19], v[8:9]
	;; [unrolled: 1-line block ×6, first 2 shown]
	v_add_f64 v[8:9], v[74:75], v[82:83]
	v_add_f64 v[14:15], v[78:79], -v[74:75]
	v_add_f64 v[74:75], v[80:81], -v[82:83]
	;; [unrolled: 1-line block ×3, first 2 shown]
	v_fma_f64 v[8:9], v[8:9], -0.5, v[10:11]
	v_add_f64 v[14:15], v[14:15], v[74:75]
	v_fma_f64 v[10:11], v[84:85], s[18:19], v[8:9]
	v_fma_f64 v[8:9], v[84:85], s[16:17], v[8:9]
	v_add_f64 v[84:85], v[98:99], -v[96:97]
	v_fma_f64 v[10:11], v[12:13], s[20:21], v[10:11]
	v_fma_f64 v[8:9], v[12:13], s[4:5], v[8:9]
	v_add_f64 v[82:83], v[82:83], v[84:85]
	v_fma_f64 v[74:75], v[14:15], s[12:13], v[10:11]
	v_fma_f64 v[78:79], v[14:15], s[12:13], v[8:9]
	v_add_f64 v[8:9], v[4:5], v[86:87]
	v_add_f64 v[10:11], v[56:57], -v[92:93]
	v_add_f64 v[14:15], v[58:59], -v[90:91]
	ds_write_b128 v194, v[60:63] offset:2720
	ds_write_b128 v194, v[68:71] offset:2992
	;; [unrolled: 1-line block ×5, first 2 shown]
	v_add_f64 v[8:9], v[8:9], v[94:95]
	v_add_f64 v[8:9], v[8:9], v[96:97]
	v_add_f64 v[80:81], v[8:9], v[98:99]
	v_add_f64 v[8:9], v[94:95], v[96:97]
	v_fma_f64 v[8:9], v[8:9], -0.5, v[4:5]
	v_fma_f64 v[12:13], v[10:11], s[18:19], v[8:9]
	v_fma_f64 v[8:9], v[10:11], s[16:17], v[8:9]
	;; [unrolled: 1-line block ×6, first 2 shown]
	v_add_f64 v[8:9], v[86:87], v[98:99]
	v_add_f64 v[12:13], v[94:95], -v[86:87]
	v_add_f64 v[82:83], v[96:97], -v[98:99]
	v_fma_f64 v[4:5], v[8:9], -0.5, v[4:5]
	v_add_f64 v[12:13], v[12:13], v[82:83]
	v_fma_f64 v[8:9], v[14:15], s[16:17], v[4:5]
	v_fma_f64 v[4:5], v[14:15], s[18:19], v[4:5]
	v_add_f64 v[14:15], v[56:57], -v[58:59]
	v_fma_f64 v[8:9], v[10:11], s[4:5], v[8:9]
	v_fma_f64 v[4:5], v[10:11], s[20:21], v[4:5]
	;; [unrolled: 1-line block ×4, first 2 shown]
	v_add_f64 v[4:5], v[6:7], v[56:57]
	v_add_f64 v[8:9], v[86:87], -v[98:99]
	v_add_f64 v[12:13], v[94:95], -v[96:97]
	;; [unrolled: 1-line block ×6, first 2 shown]
	v_add_f64 v[4:5], v[4:5], v[58:59]
	v_add_f64 v[14:15], v[14:15], v[86:87]
	;; [unrolled: 1-line block ×5, first 2 shown]
	v_fma_f64 v[4:5], v[4:5], -0.5, v[6:7]
	v_fma_f64 v[10:11], v[8:9], s[16:17], v[4:5]
	v_fma_f64 v[4:5], v[8:9], s[18:19], v[4:5]
	;; [unrolled: 1-line block ×6, first 2 shown]
	v_add_f64 v[4:5], v[56:57], v[92:93]
	v_add_f64 v[10:11], v[58:59], -v[56:57]
	v_add_f64 v[14:15], v[90:91], -v[92:93]
	;; [unrolled: 1-line block ×5, first 2 shown]
	v_fma_f64 v[4:5], v[4:5], -0.5, v[6:7]
	v_add_f64 v[10:11], v[10:11], v[14:15]
	v_add_f64 v[14:15], v[102:103], -v[120:121]
	v_fma_f64 v[6:7], v[12:13], s[18:19], v[4:5]
	v_fma_f64 v[4:5], v[12:13], s[16:17], v[4:5]
	v_add_f64 v[12:13], v[126:127], -v[128:129]
	v_fma_f64 v[6:7], v[8:9], s[20:21], v[6:7]
	v_fma_f64 v[4:5], v[8:9], s[4:5], v[4:5]
	v_add_f64 v[56:57], v[12:13], v[56:57]
	v_fma_f64 v[90:91], v[10:11], s[12:13], v[6:7]
	v_add_f64 v[6:7], v[128:129], v[130:131]
	v_fma_f64 v[174:175], v[10:11], s[12:13], v[4:5]
	v_add_f64 v[10:11], v[100:101], -v[122:123]
	v_add_f64 v[4:5], v[0:1], v[126:127]
	ds_write_b128 v233, v[80:83] offset:4080
	ds_write_b128 v233, v[168:171] offset:4352
	;; [unrolled: 1-line block ×5, first 2 shown]
	v_fma_f64 v[6:7], v[6:7], -0.5, v[0:1]
	v_add_f64 v[4:5], v[4:5], v[128:129]
	v_fma_f64 v[8:9], v[10:11], s[18:19], v[6:7]
	v_fma_f64 v[6:7], v[10:11], s[16:17], v[6:7]
	v_add_f64 v[4:5], v[4:5], v[130:131]
	v_fma_f64 v[8:9], v[14:15], s[4:5], v[8:9]
	v_fma_f64 v[6:7], v[14:15], s[20:21], v[6:7]
	;; [unrolled: 3-line block ×3, first 2 shown]
	v_add_f64 v[6:7], v[126:127], v[132:133]
	v_add_f64 v[56:57], v[128:129], -v[126:127]
	v_fma_f64 v[0:1], v[6:7], -0.5, v[0:1]
	v_add_f64 v[58:59], v[56:57], v[58:59]
	v_fma_f64 v[6:7], v[14:15], s[16:17], v[0:1]
	v_fma_f64 v[0:1], v[14:15], s[18:19], v[0:1]
	;; [unrolled: 1-line block ×4, first 2 shown]
	v_add_f64 v[10:11], v[102:103], v[120:121]
	v_fma_f64 v[56:57], v[58:59], s[12:13], v[6:7]
	v_fma_f64 v[0:1], v[58:59], s[12:13], v[0:1]
	v_fma_f64 v[10:11], v[10:11], -0.5, v[2:3]
	v_add_f64 v[58:59], v[100:101], -v[102:103]
	v_add_f64 v[6:7], v[2:3], v[100:101]
	v_fma_f64 v[14:15], v[92:93], s[16:17], v[10:11]
	v_fma_f64 v[10:11], v[92:93], s[18:19], v[10:11]
	v_add_f64 v[58:59], v[58:59], v[96:97]
	v_add_f64 v[6:7], v[6:7], v[102:103]
	v_add_f64 v[96:97], v[102:103], -v[100:101]
	v_fma_f64 v[14:15], v[94:95], s[20:21], v[14:15]
	v_fma_f64 v[10:11], v[94:95], s[4:5], v[10:11]
	v_add_f64 v[6:7], v[6:7], v[120:121]
	v_add_f64 v[96:97], v[96:97], v[98:99]
	v_fma_f64 v[14:15], v[58:59], s[12:13], v[14:15]
	v_fma_f64 v[10:11], v[58:59], s[12:13], v[10:11]
	v_add_f64 v[58:59], v[100:101], v[122:123]
	v_add_f64 v[6:7], v[6:7], v[122:123]
	v_fma_f64 v[2:3], v[58:59], -0.5, v[2:3]
	v_fma_f64 v[58:59], v[94:95], s[18:19], v[2:3]
	v_fma_f64 v[2:3], v[94:95], s[16:17], v[2:3]
	;; [unrolled: 1-line block ×6, first 2 shown]
	ds_write_b128 v234, v[4:7] offset:5440
	ds_write_b128 v234, v[12:15] offset:5712
	;; [unrolled: 1-line block ×5, first 2 shown]
	s_waitcnt lgkmcnt(0)
	s_barrier
	buffer_gl0_inv
	ds_read_b128 v[16:19], v156
	ds_read_b128 v[68:71], v156 offset:1360
	ds_read_b128 v[72:75], v156 offset:2720
	;; [unrolled: 1-line block ×24, first 2 shown]
	s_clause 0x3
	global_load_dwordx4 v[229:232], v148, s[0:1] offset:1136
	global_load_dwordx4 v[120:123], v148, s[0:1] offset:1120
	;; [unrolled: 1-line block ×4, first 2 shown]
	s_waitcnt vmcnt(0) lgkmcnt(23)
	v_mul_f64 v[100:101], v[70:71], v[130:131]
	v_fma_f64 v[252:253], v[68:69], v[128:129], -v[100:101]
	v_mul_f64 v[68:69], v[68:69], v[130:131]
	buffer_store_dword v128, off, s[60:63], 0 offset:592 ; 4-byte Folded Spill
	buffer_store_dword v129, off, s[60:63], 0 offset:596 ; 4-byte Folded Spill
	buffer_store_dword v130, off, s[60:63], 0 offset:600 ; 4-byte Folded Spill
	buffer_store_dword v131, off, s[60:63], 0 offset:604 ; 4-byte Folded Spill
	v_fma_f64 v[150:151], v[70:71], v[128:129], v[68:69]
	s_waitcnt lgkmcnt(22)
	v_mul_f64 v[68:69], v[74:75], v[126:127]
	v_fma_f64 v[254:255], v[72:73], v[124:125], -v[68:69]
	v_mul_f64 v[68:69], v[72:73], v[126:127]
	buffer_store_dword v124, off, s[60:63], 0 offset:576 ; 4-byte Folded Spill
	buffer_store_dword v125, off, s[60:63], 0 offset:580 ; 4-byte Folded Spill
	buffer_store_dword v126, off, s[60:63], 0 offset:584 ; 4-byte Folded Spill
	buffer_store_dword v127, off, s[60:63], 0 offset:588 ; 4-byte Folded Spill
	v_fma_f64 v[250:251], v[74:75], v[124:125], v[68:69]
	s_waitcnt lgkmcnt(21)
	v_mul_f64 v[68:69], v[78:79], v[122:123]
	v_fma_f64 v[152:153], v[76:77], v[120:121], -v[68:69]
	v_mul_f64 v[68:69], v[76:77], v[122:123]
	buffer_store_dword v120, off, s[60:63], 0 offset:560 ; 4-byte Folded Spill
	buffer_store_dword v121, off, s[60:63], 0 offset:564 ; 4-byte Folded Spill
	buffer_store_dword v122, off, s[60:63], 0 offset:568 ; 4-byte Folded Spill
	buffer_store_dword v123, off, s[60:63], 0 offset:572 ; 4-byte Folded Spill
	v_fma_f64 v[148:149], v[78:79], v[120:121], v[68:69]
	s_waitcnt lgkmcnt(20)
	v_mul_f64 v[68:69], v[82:83], v[231:232]
	v_fma_f64 v[154:155], v[80:81], v[229:230], -v[68:69]
	v_mul_f64 v[68:69], v[80:81], v[231:232]
	v_fma_f64 v[248:249], v[82:83], v[229:230], v[68:69]
	v_lshlrev_b32_e32 v68, 6, v225
	s_clause 0x3
	global_load_dwordx4 v[74:77], v68, s[0:1] offset:1136
	global_load_dwordx4 v[100:103], v68, s[0:1] offset:1120
	;; [unrolled: 1-line block ×4, first 2 shown]
	s_waitcnt vmcnt(0) lgkmcnt(18)
	v_mul_f64 v[68:69], v[86:87], v[72:73]
	v_fma_f64 v[140:141], v[84:85], v[70:71], -v[68:69]
	v_mul_f64 v[68:69], v[84:85], v[72:73]
	buffer_store_dword v70, off, s[60:63], 0 offset:672 ; 4-byte Folded Spill
	buffer_store_dword v71, off, s[60:63], 0 offset:676 ; 4-byte Folded Spill
	;; [unrolled: 1-line block ×4, first 2 shown]
	v_fma_f64 v[72:73], v[86:87], v[70:71], v[68:69]
	s_waitcnt lgkmcnt(17)
	v_mul_f64 v[68:69], v[90:91], v[80:81]
	s_waitcnt lgkmcnt(15)
	v_mul_f64 v[70:71], v[98:99], v[76:77]
	v_fma_f64 v[142:143], v[88:89], v[78:79], -v[68:69]
	v_mul_f64 v[68:69], v[88:89], v[80:81]
	buffer_store_dword v78, off, s[60:63], 0 offset:640 ; 4-byte Folded Spill
	buffer_store_dword v79, off, s[60:63], 0 offset:644 ; 4-byte Folded Spill
	;; [unrolled: 1-line block ×4, first 2 shown]
	v_fma_f64 v[146:147], v[96:97], v[74:75], -v[70:71]
	v_mul_f64 v[70:71], v[96:97], v[76:77]
	v_fma_f64 v[80:81], v[90:91], v[78:79], v[68:69]
	v_mul_f64 v[68:69], v[94:95], v[102:103]
	v_fma_f64 v[144:145], v[92:93], v[100:101], -v[68:69]
	v_mul_f64 v[68:69], v[92:93], v[102:103]
	buffer_store_dword v100, off, s[60:63], 0 offset:624 ; 4-byte Folded Spill
	buffer_store_dword v101, off, s[60:63], 0 offset:628 ; 4-byte Folded Spill
	;; [unrolled: 1-line block ×8, first 2 shown]
	v_fma_f64 v[68:69], v[94:95], v[100:101], v[68:69]
	v_fma_f64 v[76:77], v[98:99], v[74:75], v[70:71]
	v_lshlrev_b32_e32 v70, 6, v196
	s_clause 0x3
	global_load_dwordx4 v[90:93], v70, s[0:1] offset:1136
	global_load_dwordx4 v[94:97], v70, s[0:1] offset:1120
	global_load_dwordx4 v[86:89], v70, s[0:1] offset:1104
	global_load_dwordx4 v[82:85], v70, s[0:1] offset:1088
	s_waitcnt vmcnt(0) lgkmcnt(13)
	v_mul_f64 v[70:71], v[66:67], v[84:85]
	v_fma_f64 v[70:71], v[64:65], v[82:83], -v[70:71]
	v_mul_f64 v[64:65], v[64:65], v[84:85]
	buffer_store_dword v82, off, s[60:63], 0 offset:720 ; 4-byte Folded Spill
	buffer_store_dword v83, off, s[60:63], 0 offset:724 ; 4-byte Folded Spill
	buffer_store_dword v84, off, s[60:63], 0 offset:728 ; 4-byte Folded Spill
	buffer_store_dword v85, off, s[60:63], 0 offset:732 ; 4-byte Folded Spill
	v_fma_f64 v[84:85], v[66:67], v[82:83], v[64:65]
	s_waitcnt lgkmcnt(12)
	v_mul_f64 v[64:65], v[62:63], v[88:89]
	v_fma_f64 v[74:75], v[60:61], v[86:87], -v[64:65]
	v_mul_f64 v[60:61], v[60:61], v[88:89]
	buffer_store_dword v86, off, s[60:63], 0 offset:704 ; 4-byte Folded Spill
	buffer_store_dword v87, off, s[60:63], 0 offset:708 ; 4-byte Folded Spill
	buffer_store_dword v88, off, s[60:63], 0 offset:712 ; 4-byte Folded Spill
	buffer_store_dword v89, off, s[60:63], 0 offset:716 ; 4-byte Folded Spill
	v_fma_f64 v[86:87], v[62:63], v[86:87], v[60:61]
	s_waitcnt lgkmcnt(11)
	;; [unrolled: 9-line block ×3, first 2 shown]
	v_mul_f64 v[56:57], v[54:55], v[92:93]
	v_fma_f64 v[138:139], v[52:53], v[90:91], -v[56:57]
	v_mul_f64 v[52:53], v[52:53], v[92:93]
	buffer_store_dword v90, off, s[60:63], 0 offset:656 ; 4-byte Folded Spill
	buffer_store_dword v91, off, s[60:63], 0 offset:660 ; 4-byte Folded Spill
	;; [unrolled: 1-line block ×4, first 2 shown]
	v_fma_f64 v[82:83], v[54:55], v[90:91], v[52:53]
	v_lshlrev_b32_e32 v52, 6, v216
	s_clause 0x3
	global_load_dwordx4 v[213:216], v52, s[0:1] offset:1136
	global_load_dwordx4 v[54:57], v52, s[0:1] offset:1120
	global_load_dwordx4 v[58:61], v52, s[0:1] offset:1104
	global_load_dwordx4 v[62:65], v52, s[0:1] offset:1088
	s_waitcnt vmcnt(0) lgkmcnt(8)
	v_mul_f64 v[52:53], v[50:51], v[64:65]
	v_fma_f64 v[90:91], v[48:49], v[62:63], -v[52:53]
	v_mul_f64 v[48:49], v[48:49], v[64:65]
	buffer_store_dword v62, off, s[60:63], 0 offset:768 ; 4-byte Folded Spill
	buffer_store_dword v63, off, s[60:63], 0 offset:772 ; 4-byte Folded Spill
	;; [unrolled: 1-line block ×4, first 2 shown]
	v_fma_f64 v[96:97], v[50:51], v[62:63], v[48:49]
	s_waitcnt lgkmcnt(7)
	v_mul_f64 v[48:49], v[46:47], v[60:61]
	v_add_f64 v[50:51], v[76:77], -v[68:69]
	v_fma_f64 v[124:125], v[44:45], v[58:59], -v[48:49]
	v_mul_f64 v[44:45], v[44:45], v[60:61]
	buffer_store_dword v58, off, s[60:63], 0 offset:752 ; 4-byte Folded Spill
	buffer_store_dword v59, off, s[60:63], 0 offset:756 ; 4-byte Folded Spill
	;; [unrolled: 1-line block ×4, first 2 shown]
	v_add_f64 v[48:49], v[146:147], -v[144:145]
	v_fma_f64 v[98:99], v[46:47], v[58:59], v[44:45]
	s_waitcnt lgkmcnt(6)
	v_mul_f64 v[44:45], v[42:43], v[56:57]
	v_add_f64 v[46:47], v[140:141], -v[142:143]
	v_fma_f64 v[126:127], v[40:41], v[54:55], -v[44:45]
	v_mul_f64 v[40:41], v[40:41], v[56:57]
	buffer_store_dword v54, off, s[60:63], 0 offset:736 ; 4-byte Folded Spill
	buffer_store_dword v55, off, s[60:63], 0 offset:740 ; 4-byte Folded Spill
	;; [unrolled: 1-line block ×4, first 2 shown]
	v_add_f64 v[46:47], v[46:47], v[48:49]
	v_fma_f64 v[92:93], v[42:43], v[54:55], v[40:41]
	s_waitcnt lgkmcnt(5)
	v_mul_f64 v[40:41], v[38:39], v[215:216]
	v_add_f64 v[42:43], v[254:255], -v[152:153]
	v_fma_f64 v[128:129], v[36:37], v[213:214], -v[40:41]
	v_mul_f64 v[36:37], v[36:37], v[215:216]
	v_fma_f64 v[94:95], v[38:39], v[213:214], v[36:37]
	v_lshlrev_b32_e32 v36, 6, v228
	s_clause 0x3
	global_load_dwordx4 v[225:228], v36, s[0:1] offset:1136
	global_load_dwordx4 v[236:239], v36, s[0:1] offset:1120
	;; [unrolled: 1-line block ×4, first 2 shown]
	v_add_f64 v[38:39], v[148:149], -v[248:249]
	s_waitcnt vmcnt(0) lgkmcnt(3)
	v_mul_f64 v[36:37], v[34:35], v[246:247]
	v_fma_f64 v[130:131], v[32:33], v[244:245], -v[36:37]
	v_mul_f64 v[32:33], v[32:33], v[246:247]
	v_fma_f64 v[100:101], v[34:35], v[244:245], v[32:33]
	s_waitcnt lgkmcnt(2)
	v_mul_f64 v[32:33], v[30:31], v[242:243]
	v_add_f64 v[34:35], v[152:153], -v[154:155]
	v_fma_f64 v[132:133], v[28:29], v[240:241], -v[32:33]
	v_mul_f64 v[28:29], v[28:29], v[242:243]
	v_add_f64 v[32:33], v[154:155], -v[152:153]
	v_fma_f64 v[102:103], v[30:31], v[240:241], v[28:29]
	s_waitcnt lgkmcnt(1)
	v_mul_f64 v[28:29], v[26:27], v[238:239]
	v_add_f64 v[30:31], v[250:251], -v[148:149]
	v_fma_f64 v[134:135], v[24:25], v[236:237], -v[28:29]
	v_mul_f64 v[24:25], v[24:25], v[238:239]
	v_add_f64 v[28:29], v[252:253], -v[254:255]
	v_fma_f64 v[120:121], v[26:27], v[236:237], v[24:25]
	s_waitcnt lgkmcnt(0)
	v_mul_f64 v[24:25], v[22:23], v[227:228]
	v_add_f64 v[28:29], v[28:29], v[32:33]
	v_fma_f64 v[136:137], v[20:21], v[225:226], -v[24:25]
	v_mul_f64 v[20:21], v[20:21], v[227:228]
	v_fma_f64 v[122:123], v[22:23], v[225:226], v[20:21]
	v_add_f64 v[20:21], v[16:17], v[252:253]
	v_add_f64 v[22:23], v[150:151], -v[248:249]
	v_add_f64 v[20:21], v[20:21], v[254:255]
	v_add_f64 v[20:21], v[20:21], v[152:153]
	;; [unrolled: 1-line block ×4, first 2 shown]
	v_fma_f64 v[20:21], v[20:21], -0.5, v[16:17]
	v_fma_f64 v[26:27], v[22:23], s[18:19], v[20:21]
	v_fma_f64 v[20:21], v[22:23], s[16:17], v[20:21]
	;; [unrolled: 1-line block ×6, first 2 shown]
	v_add_f64 v[20:21], v[252:253], v[154:155]
	v_add_f64 v[26:27], v[254:255], -v[252:253]
	v_fma_f64 v[16:17], v[20:21], -0.5, v[16:17]
	v_add_f64 v[26:27], v[26:27], v[34:35]
	v_add_f64 v[34:35], v[248:249], -v[148:149]
	v_fma_f64 v[20:21], v[30:31], s[16:17], v[16:17]
	v_fma_f64 v[16:17], v[30:31], s[18:19], v[16:17]
	v_add_f64 v[30:31], v[150:151], -v[250:251]
	v_fma_f64 v[20:21], v[22:23], s[4:5], v[20:21]
	v_fma_f64 v[16:17], v[22:23], s[20:21], v[16:17]
	v_add_f64 v[30:31], v[30:31], v[34:35]
	v_fma_f64 v[36:37], v[26:27], s[12:13], v[20:21]
	v_fma_f64 v[40:41], v[26:27], s[12:13], v[16:17]
	v_add_f64 v[16:17], v[18:19], v[150:151]
	v_add_f64 v[20:21], v[252:253], -v[154:155]
	v_add_f64 v[16:17], v[16:17], v[250:251]
	v_add_f64 v[16:17], v[16:17], v[148:149]
	;; [unrolled: 1-line block ×4, first 2 shown]
	ds_write_b128 v156, v[24:27]
	v_fma_f64 v[16:17], v[16:17], -0.5, v[18:19]
	v_add_co_u32 v24, s0, s2, v157
	v_add_co_ci_u32_e64 v25, null, s3, 0, s0
	v_fma_f64 v[22:23], v[20:21], s[16:17], v[16:17]
	v_fma_f64 v[16:17], v[20:21], s[18:19], v[16:17]
	;; [unrolled: 1-line block ×6, first 2 shown]
	v_add_f64 v[16:17], v[150:151], v[248:249]
	v_add_f64 v[22:23], v[250:251], -v[150:151]
	v_fma_f64 v[16:17], v[16:17], -0.5, v[18:19]
	v_add_f64 v[22:23], v[22:23], v[38:39]
	v_fma_f64 v[18:19], v[42:43], s[18:19], v[16:17]
	v_fma_f64 v[16:17], v[42:43], s[16:17], v[16:17]
	;; [unrolled: 1-line block ×6, first 2 shown]
	v_add_f64 v[16:17], v[12:13], v[140:141]
	v_add_f64 v[18:19], v[72:73], -v[76:77]
	v_add_f64 v[22:23], v[80:81], -v[68:69]
	v_add_f64 v[16:17], v[16:17], v[142:143]
	v_add_f64 v[16:17], v[16:17], v[144:145]
	;; [unrolled: 1-line block ×4, first 2 shown]
	v_fma_f64 v[16:17], v[16:17], -0.5, v[12:13]
	v_fma_f64 v[20:21], v[18:19], s[18:19], v[16:17]
	v_fma_f64 v[16:17], v[18:19], s[16:17], v[16:17]
	;; [unrolled: 1-line block ×6, first 2 shown]
	v_add_f64 v[16:17], v[140:141], v[146:147]
	v_add_f64 v[20:21], v[142:143], -v[140:141]
	v_add_f64 v[46:47], v[144:145], -v[146:147]
	v_fma_f64 v[12:13], v[16:17], -0.5, v[12:13]
	v_add_f64 v[20:21], v[20:21], v[46:47]
	v_fma_f64 v[16:17], v[22:23], s[16:17], v[12:13]
	v_fma_f64 v[12:13], v[22:23], s[18:19], v[12:13]
	v_add_f64 v[22:23], v[72:73], -v[80:81]
	v_fma_f64 v[16:17], v[18:19], s[4:5], v[16:17]
	v_fma_f64 v[12:13], v[18:19], s[20:21], v[12:13]
	v_add_f64 v[22:23], v[22:23], v[50:51]
	v_fma_f64 v[56:57], v[20:21], s[12:13], v[16:17]
	v_fma_f64 v[60:61], v[20:21], s[12:13], v[12:13]
	v_add_f64 v[12:13], v[14:15], v[72:73]
	v_add_f64 v[16:17], v[140:141], -v[146:147]
	v_add_f64 v[20:21], v[142:143], -v[144:145]
	v_add_f64 v[12:13], v[12:13], v[80:81]
	v_add_f64 v[12:13], v[12:13], v[68:69]
	v_add_f64 v[46:47], v[12:13], v[76:77]
	v_add_f64 v[12:13], v[80:81], v[68:69]
	v_fma_f64 v[12:13], v[12:13], -0.5, v[14:15]
	v_fma_f64 v[18:19], v[16:17], s[16:17], v[12:13]
	v_fma_f64 v[12:13], v[16:17], s[18:19], v[12:13]
	v_fma_f64 v[18:19], v[20:21], s[20:21], v[18:19]
	v_fma_f64 v[12:13], v[20:21], s[4:5], v[12:13]
	v_fma_f64 v[54:55], v[22:23], s[12:13], v[18:19]
	v_fma_f64 v[50:51], v[22:23], s[12:13], v[12:13]
	v_add_f64 v[12:13], v[72:73], v[76:77]
	v_add_f64 v[18:19], v[80:81], -v[72:73]
	v_add_f64 v[22:23], v[68:69], -v[76:77]
	v_fma_f64 v[12:13], v[12:13], -0.5, v[14:15]
	v_add_f64 v[18:19], v[18:19], v[22:23]
	v_add_f64 v[22:23], v[138:139], -v[88:89]
	v_fma_f64 v[14:15], v[20:21], s[18:19], v[12:13]
	v_fma_f64 v[12:13], v[20:21], s[16:17], v[12:13]
	v_add_f64 v[20:21], v[70:71], -v[74:75]
	v_fma_f64 v[14:15], v[16:17], s[20:21], v[14:15]
	v_fma_f64 v[12:13], v[16:17], s[4:5], v[12:13]
	v_add_f64 v[20:21], v[20:21], v[22:23]
	v_add_f64 v[22:23], v[130:131], -v[132:133]
	v_fma_f64 v[58:59], v[18:19], s[12:13], v[14:15]
	v_fma_f64 v[62:63], v[18:19], s[12:13], v[12:13]
	v_add_f64 v[12:13], v[4:5], v[70:71]
	v_add_f64 v[14:15], v[84:85], -v[82:83]
	v_add_f64 v[18:19], v[86:87], -v[78:79]
	v_add_f64 v[12:13], v[12:13], v[74:75]
	v_add_f64 v[12:13], v[12:13], v[88:89]
	v_add_f64 v[64:65], v[12:13], v[138:139]
	v_add_f64 v[12:13], v[74:75], v[88:89]
	v_fma_f64 v[12:13], v[12:13], -0.5, v[4:5]
	v_fma_f64 v[16:17], v[14:15], s[18:19], v[12:13]
	v_fma_f64 v[12:13], v[14:15], s[16:17], v[12:13]
	v_fma_f64 v[16:17], v[18:19], s[4:5], v[16:17]
	v_fma_f64 v[12:13], v[18:19], s[20:21], v[12:13]
	v_fma_f64 v[72:73], v[20:21], s[12:13], v[16:17]
	v_fma_f64 v[68:69], v[20:21], s[12:13], v[12:13]
	v_add_f64 v[12:13], v[70:71], v[138:139]
	v_add_f64 v[16:17], v[74:75], -v[70:71]
	v_add_f64 v[20:21], v[88:89], -v[138:139]
	v_fma_f64 v[4:5], v[12:13], -0.5, v[4:5]
	v_add_f64 v[16:17], v[16:17], v[20:21]
	v_add_f64 v[20:21], v[82:83], -v[78:79]
	v_fma_f64 v[12:13], v[18:19], s[16:17], v[4:5]
	v_fma_f64 v[4:5], v[18:19], s[18:19], v[4:5]
	v_add_f64 v[18:19], v[84:85], -v[86:87]
	v_fma_f64 v[12:13], v[14:15], s[4:5], v[12:13]
	v_fma_f64 v[4:5], v[14:15], s[20:21], v[4:5]
	v_add_f64 v[18:19], v[18:19], v[20:21]
	v_add_f64 v[20:21], v[94:95], -v[92:93]
	;; [unrolled: 29-line block ×3, first 2 shown]
	v_fma_f64 v[82:83], v[14:15], s[12:13], v[6:7]
	v_fma_f64 v[78:79], v[14:15], s[12:13], v[4:5]
	v_add_f64 v[4:5], v[0:1], v[90:91]
	v_add_f64 v[6:7], v[96:97], -v[94:95]
	v_add_f64 v[14:15], v[98:99], -v[92:93]
	v_add_f64 v[18:19], v[18:19], v[20:21]
	v_add_f64 v[4:5], v[4:5], v[124:125]
	;; [unrolled: 1-line block ×5, first 2 shown]
	v_fma_f64 v[4:5], v[4:5], -0.5, v[0:1]
	v_fma_f64 v[12:13], v[6:7], s[18:19], v[4:5]
	v_fma_f64 v[4:5], v[6:7], s[16:17], v[4:5]
	;; [unrolled: 1-line block ×6, first 2 shown]
	v_add_f64 v[4:5], v[90:91], v[128:129]
	v_add_f64 v[12:13], v[124:125], -v[90:91]
	v_add_f64 v[16:17], v[126:127], -v[128:129]
	v_fma_f64 v[4:5], v[4:5], -0.5, v[0:1]
	v_add_f64 v[12:13], v[12:13], v[16:17]
	v_add_f64 v[16:17], v[124:125], -v[126:127]
	v_fma_f64 v[0:1], v[14:15], s[16:17], v[4:5]
	v_fma_f64 v[4:5], v[14:15], s[18:19], v[4:5]
	;; [unrolled: 1-line block ×4, first 2 shown]
	v_add_f64 v[6:7], v[2:3], v[96:97]
	v_fma_f64 v[0:1], v[12:13], s[12:13], v[0:1]
	v_fma_f64 v[4:5], v[12:13], s[12:13], v[4:5]
	v_add_f64 v[6:7], v[6:7], v[98:99]
	v_add_f64 v[12:13], v[90:91], -v[128:129]
	v_add_f64 v[6:7], v[6:7], v[92:93]
	v_add_f64 v[86:87], v[6:7], v[94:95]
	;; [unrolled: 1-line block ×3, first 2 shown]
	v_fma_f64 v[6:7], v[6:7], -0.5, v[2:3]
	v_fma_f64 v[14:15], v[12:13], s[16:17], v[6:7]
	v_fma_f64 v[6:7], v[12:13], s[18:19], v[6:7]
	;; [unrolled: 1-line block ×6, first 2 shown]
	v_add_f64 v[6:7], v[96:97], v[94:95]
	v_add_f64 v[14:15], v[98:99], -v[96:97]
	v_add_f64 v[18:19], v[92:93], -v[94:95]
	;; [unrolled: 1-line block ×6, first 2 shown]
	v_fma_f64 v[6:7], v[6:7], -0.5, v[2:3]
	v_add_f64 v[14:15], v[14:15], v[18:19]
	v_add_f64 v[18:19], v[102:103], -v[120:121]
	v_add_f64 v[22:23], v[22:23], v[92:93]
	v_add_f64 v[92:93], v[134:135], -v[136:137]
	;; [unrolled: 2-line block ×3, first 2 shown]
	v_fma_f64 v[2:3], v[16:17], s[18:19], v[6:7]
	v_fma_f64 v[6:7], v[16:17], s[16:17], v[6:7]
	;; [unrolled: 1-line block ×4, first 2 shown]
	v_add_f64 v[12:13], v[8:9], v[130:131]
	v_fma_f64 v[2:3], v[14:15], s[12:13], v[2:3]
	v_fma_f64 v[6:7], v[14:15], s[12:13], v[6:7]
	v_add_f64 v[12:13], v[12:13], v[132:133]
	v_add_f64 v[14:15], v[100:101], -v[122:123]
	v_add_f64 v[12:13], v[12:13], v[134:135]
	v_add_f64 v[20:21], v[12:13], v[136:137]
	;; [unrolled: 1-line block ×3, first 2 shown]
	v_fma_f64 v[12:13], v[12:13], -0.5, v[8:9]
	v_fma_f64 v[16:17], v[14:15], s[18:19], v[12:13]
	v_fma_f64 v[12:13], v[14:15], s[16:17], v[12:13]
	;; [unrolled: 1-line block ×6, first 2 shown]
	v_add_f64 v[12:13], v[130:131], v[136:137]
	v_add_f64 v[22:23], v[132:133], -v[130:131]
	v_fma_f64 v[8:9], v[12:13], -0.5, v[8:9]
	v_add_f64 v[22:23], v[22:23], v[92:93]
	v_add_f64 v[92:93], v[130:131], -v[136:137]
	v_fma_f64 v[12:13], v[18:19], s[16:17], v[8:9]
	v_fma_f64 v[8:9], v[18:19], s[18:19], v[8:9]
	;; [unrolled: 1-line block ×4, first 2 shown]
	v_add_f64 v[14:15], v[10:11], v[100:101]
	v_fma_f64 v[12:13], v[22:23], s[12:13], v[12:13]
	v_fma_f64 v[8:9], v[22:23], s[12:13], v[8:9]
	v_add_f64 v[14:15], v[14:15], v[102:103]
	v_add_f64 v[14:15], v[14:15], v[120:121]
	;; [unrolled: 1-line block ×4, first 2 shown]
	v_fma_f64 v[14:15], v[14:15], -0.5, v[10:11]
	v_fma_f64 v[18:19], v[92:93], s[16:17], v[14:15]
	v_fma_f64 v[14:15], v[92:93], s[18:19], v[14:15]
	;; [unrolled: 1-line block ×6, first 2 shown]
	v_add_f64 v[14:15], v[100:101], v[122:123]
	v_add_f64 v[96:97], v[102:103], -v[100:101]
	v_fma_f64 v[10:11], v[14:15], -0.5, v[10:11]
	v_add_f64 v[96:97], v[96:97], v[98:99]
	v_fma_f64 v[14:15], v[94:95], s[18:19], v[10:11]
	v_fma_f64 v[10:11], v[94:95], s[16:17], v[10:11]
	v_fma_f64 v[14:15], v[92:93], s[20:21], v[14:15]
	v_fma_f64 v[10:11], v[92:93], s[4:5], v[10:11]
	v_fma_f64 v[14:15], v[96:97], s[12:13], v[14:15]
	v_fma_f64 v[10:11], v[96:97], s[12:13], v[10:11]
	ds_write_b128 v159, v[32:35] offset:1360
	ds_write_b128 v159, v[36:39] offset:2720
	;; [unrolled: 1-line block ×24, first 2 shown]
	s_waitcnt lgkmcnt(0)
	s_waitcnt_vscnt null, 0x0
	s_barrier
	buffer_gl0_inv
	global_load_dwordx4 v[30:33], v157, s[2:3]
	ds_read_b128 v[26:29], v156
	s_waitcnt vmcnt(0) lgkmcnt(0)
	v_mul_f64 v[34:35], v[28:29], v[32:33]
	v_fma_f64 v[34:35], v[26:27], v[30:31], -v[34:35]
	v_mul_f64 v[26:27], v[26:27], v[32:33]
	v_fma_f64 v[36:37], v[28:29], v[30:31], v[26:27]
	global_load_dwordx4 v[30:33], v157, s[2:3] offset:400
	ds_read_b128 v[26:29], v156 offset:400
	ds_write_b128 v156, v[34:37]
	s_waitcnt vmcnt(0) lgkmcnt(1)
	v_mul_f64 v[34:35], v[28:29], v[32:33]
	v_fma_f64 v[34:35], v[26:27], v[30:31], -v[34:35]
	v_mul_f64 v[26:27], v[26:27], v[32:33]
	v_fma_f64 v[36:37], v[28:29], v[30:31], v[26:27]
	global_load_dwordx4 v[30:33], v157, s[2:3] offset:800
	ds_read_b128 v[26:29], v156 offset:800
	ds_write_b128 v156, v[34:37] offset:400
	s_waitcnt vmcnt(0) lgkmcnt(1)
	v_mul_f64 v[34:35], v[28:29], v[32:33]
	v_fma_f64 v[34:35], v[26:27], v[30:31], -v[34:35]
	v_mul_f64 v[26:27], v[26:27], v[32:33]
	v_fma_f64 v[36:37], v[28:29], v[30:31], v[26:27]
	global_load_dwordx4 v[30:33], v157, s[2:3] offset:1200
	ds_read_b128 v[26:29], v156 offset:1200
	ds_write_b128 v156, v[34:37] offset:800
	;; [unrolled: 8-line block ×4, first 2 shown]
	s_waitcnt vmcnt(0) lgkmcnt(1)
	v_mul_f64 v[34:35], v[28:29], v[32:33]
	v_fma_f64 v[34:35], v[26:27], v[30:31], -v[34:35]
	v_mul_f64 v[26:27], v[26:27], v[32:33]
	v_fma_f64 v[36:37], v[28:29], v[30:31], v[26:27]
	v_add_co_u32 v26, s0, 0x800, v24
	v_add_co_ci_u32_e64 v27, s0, 0, v25, s0
	ds_read_b128 v[28:31], v156 offset:2400
	ds_write_b128 v156, v[34:37] offset:2000
	global_load_dwordx4 v[32:35], v[26:27], off offset:352
	s_waitcnt vmcnt(0) lgkmcnt(1)
	v_mul_f64 v[36:37], v[30:31], v[34:35]
	v_fma_f64 v[36:37], v[28:29], v[32:33], -v[36:37]
	v_mul_f64 v[28:29], v[28:29], v[34:35]
	v_fma_f64 v[38:39], v[30:31], v[32:33], v[28:29]
	global_load_dwordx4 v[32:35], v[26:27], off offset:752
	ds_read_b128 v[28:31], v156 offset:2800
	ds_write_b128 v156, v[36:39] offset:2400
	s_waitcnt vmcnt(0) lgkmcnt(1)
	v_mul_f64 v[36:37], v[30:31], v[34:35]
	v_fma_f64 v[36:37], v[28:29], v[32:33], -v[36:37]
	v_mul_f64 v[28:29], v[28:29], v[34:35]
	v_fma_f64 v[38:39], v[30:31], v[32:33], v[28:29]
	global_load_dwordx4 v[32:35], v[26:27], off offset:1152
	ds_read_b128 v[28:31], v156 offset:3200
	ds_write_b128 v156, v[36:39] offset:2800
	;; [unrolled: 8-line block ×4, first 2 shown]
	s_waitcnt vmcnt(0) lgkmcnt(1)
	v_mul_f64 v[36:37], v[30:31], v[34:35]
	v_fma_f64 v[36:37], v[28:29], v[32:33], -v[36:37]
	v_mul_f64 v[28:29], v[28:29], v[34:35]
	v_fma_f64 v[38:39], v[30:31], v[32:33], v[28:29]
	v_add_co_u32 v28, s0, 0x1000, v24
	v_add_co_ci_u32_e64 v29, s0, 0, v25, s0
	ds_read_b128 v[30:33], v156 offset:4400
	ds_write_b128 v156, v[36:39] offset:4000
	global_load_dwordx4 v[34:37], v[28:29], off offset:304
	s_waitcnt vmcnt(0) lgkmcnt(1)
	v_mul_f64 v[38:39], v[32:33], v[36:37]
	v_fma_f64 v[38:39], v[30:31], v[34:35], -v[38:39]
	v_mul_f64 v[30:31], v[30:31], v[36:37]
	v_fma_f64 v[40:41], v[32:33], v[34:35], v[30:31]
	global_load_dwordx4 v[34:37], v[28:29], off offset:704
	ds_read_b128 v[30:33], v156 offset:4800
	ds_write_b128 v156, v[38:41] offset:4400
	s_waitcnt vmcnt(0) lgkmcnt(1)
	v_mul_f64 v[38:39], v[32:33], v[36:37]
	v_fma_f64 v[38:39], v[30:31], v[34:35], -v[38:39]
	v_mul_f64 v[30:31], v[30:31], v[36:37]
	v_fma_f64 v[40:41], v[32:33], v[34:35], v[30:31]
	global_load_dwordx4 v[34:37], v[28:29], off offset:1104
	ds_read_b128 v[30:33], v156 offset:5200
	ds_write_b128 v156, v[38:41] offset:4800
	;; [unrolled: 8-line block ×4, first 2 shown]
	s_waitcnt vmcnt(0) lgkmcnt(1)
	v_mul_f64 v[38:39], v[32:33], v[36:37]
	v_fma_f64 v[38:39], v[30:31], v[34:35], -v[38:39]
	v_mul_f64 v[30:31], v[30:31], v[36:37]
	v_fma_f64 v[40:41], v[32:33], v[34:35], v[30:31]
	v_add_co_u32 v30, s0, 0x1800, v24
	v_add_co_ci_u32_e64 v31, s0, 0, v25, s0
	ds_read_b128 v[32:35], v156 offset:6400
	ds_write_b128 v156, v[38:41] offset:6000
	global_load_dwordx4 v[36:39], v[30:31], off offset:256
	s_waitcnt vmcnt(0) lgkmcnt(1)
	v_mul_f64 v[40:41], v[34:35], v[38:39]
	v_fma_f64 v[40:41], v[32:33], v[36:37], -v[40:41]
	v_mul_f64 v[32:33], v[32:33], v[38:39]
	v_fma_f64 v[42:43], v[34:35], v[36:37], v[32:33]
	ds_write_b128 v156, v[40:43] offset:6400
	s_and_saveexec_b32 s0, vcc_lo
	s_cbranch_execz .LBB0_9
; %bb.8:
	global_load_dwordx4 v[36:39], v[24:25], off offset:272
	ds_read_b128 v[32:35], v159 offset:272
	s_waitcnt vmcnt(0) lgkmcnt(0)
	v_mul_f64 v[40:41], v[34:35], v[38:39]
	v_fma_f64 v[40:41], v[32:33], v[36:37], -v[40:41]
	v_mul_f64 v[32:33], v[32:33], v[38:39]
	v_fma_f64 v[42:43], v[34:35], v[36:37], v[32:33]
	global_load_dwordx4 v[36:39], v[24:25], off offset:672
	ds_write_b128 v159, v[40:43] offset:272
	ds_read_b128 v[32:35], v156 offset:672
	s_waitcnt vmcnt(0) lgkmcnt(0)
	v_mul_f64 v[40:41], v[34:35], v[38:39]
	v_fma_f64 v[40:41], v[32:33], v[36:37], -v[40:41]
	v_mul_f64 v[32:33], v[32:33], v[38:39]
	v_fma_f64 v[42:43], v[34:35], v[36:37], v[32:33]
	global_load_dwordx4 v[36:39], v[24:25], off offset:1072
	ds_read_b128 v[32:35], v156 offset:1072
	ds_write_b128 v156, v[40:43] offset:672
	s_waitcnt vmcnt(0) lgkmcnt(1)
	v_mul_f64 v[40:41], v[34:35], v[38:39]
	v_fma_f64 v[40:41], v[32:33], v[36:37], -v[40:41]
	v_mul_f64 v[32:33], v[32:33], v[38:39]
	v_fma_f64 v[42:43], v[34:35], v[36:37], v[32:33]
	global_load_dwordx4 v[36:39], v[24:25], off offset:1472
	ds_read_b128 v[32:35], v156 offset:1472
	ds_write_b128 v156, v[40:43] offset:1072
	;; [unrolled: 8-line block ×5, first 2 shown]
	s_waitcnt vmcnt(0) lgkmcnt(1)
	v_mul_f64 v[24:25], v[34:35], v[38:39]
	v_fma_f64 v[40:41], v[32:33], v[36:37], -v[24:25]
	v_mul_f64 v[24:25], v[32:33], v[38:39]
	v_fma_f64 v[42:43], v[34:35], v[36:37], v[24:25]
	v_or_b32_e32 v24, 0xc00, v157
	ds_read_b128 v[32:35], v156 offset:3072
	global_load_dwordx4 v[36:39], v24, s[2:3]
	ds_write_b128 v156, v[40:43] offset:2672
	s_waitcnt vmcnt(0) lgkmcnt(1)
	v_mul_f64 v[24:25], v[34:35], v[38:39]
	v_fma_f64 v[40:41], v[32:33], v[36:37], -v[24:25]
	v_mul_f64 v[24:25], v[32:33], v[38:39]
	v_fma_f64 v[42:43], v[34:35], v[36:37], v[24:25]
	global_load_dwordx4 v[36:39], v[26:27], off offset:1424
	ds_read_b128 v[32:35], v156 offset:3472
	ds_write_b128 v156, v[40:43] offset:3072
	s_waitcnt vmcnt(0) lgkmcnt(1)
	v_mul_f64 v[24:25], v[34:35], v[38:39]
	v_fma_f64 v[40:41], v[32:33], v[36:37], -v[24:25]
	v_mul_f64 v[24:25], v[32:33], v[38:39]
	v_fma_f64 v[42:43], v[34:35], v[36:37], v[24:25]
	global_load_dwordx4 v[24:27], v[26:27], off offset:1824
	ds_read_b128 v[32:35], v156 offset:3872
	ds_write_b128 v156, v[40:43] offset:3472
	s_waitcnt vmcnt(0) lgkmcnt(1)
	v_mul_f64 v[36:37], v[34:35], v[26:27]
	v_mul_f64 v[26:27], v[32:33], v[26:27]
	v_fma_f64 v[36:37], v[32:33], v[24:25], -v[36:37]
	v_fma_f64 v[38:39], v[34:35], v[24:25], v[26:27]
	global_load_dwordx4 v[32:35], v[28:29], off offset:176
	ds_read_b128 v[24:27], v156 offset:4272
	ds_write_b128 v156, v[36:39] offset:3872
	s_waitcnt vmcnt(0) lgkmcnt(1)
	v_mul_f64 v[36:37], v[26:27], v[34:35]
	v_fma_f64 v[36:37], v[24:25], v[32:33], -v[36:37]
	v_mul_f64 v[24:25], v[24:25], v[34:35]
	v_fma_f64 v[38:39], v[26:27], v[32:33], v[24:25]
	global_load_dwordx4 v[32:35], v[28:29], off offset:576
	ds_read_b128 v[24:27], v156 offset:4672
	ds_write_b128 v156, v[36:39] offset:4272
	s_waitcnt vmcnt(0) lgkmcnt(1)
	v_mul_f64 v[36:37], v[26:27], v[34:35]
	v_fma_f64 v[36:37], v[24:25], v[32:33], -v[36:37]
	v_mul_f64 v[24:25], v[24:25], v[34:35]
	;; [unrolled: 8-line block ×5, first 2 shown]
	v_or_b32_e32 v28, 0x1880, v157
	v_fma_f64 v[38:39], v[26:27], v[32:33], v[24:25]
	global_load_dwordx4 v[32:35], v28, s[2:3]
	ds_read_b128 v[24:27], v156 offset:6272
	ds_write_b128 v156, v[36:39] offset:5872
	s_waitcnt vmcnt(0) lgkmcnt(1)
	v_mul_f64 v[28:29], v[26:27], v[34:35]
	v_fma_f64 v[36:37], v[24:25], v[32:33], -v[28:29]
	global_load_dwordx4 v[28:31], v[30:31], off offset:528
	v_mul_f64 v[24:25], v[24:25], v[34:35]
	v_fma_f64 v[38:39], v[26:27], v[32:33], v[24:25]
	ds_read_b128 v[24:27], v156 offset:6672
	ds_write_b128 v156, v[36:39] offset:6272
	s_waitcnt vmcnt(0) lgkmcnt(1)
	v_mul_f64 v[32:33], v[26:27], v[30:31]
	v_fma_f64 v[32:33], v[24:25], v[28:29], -v[32:33]
	v_mul_f64 v[24:25], v[24:25], v[30:31]
	v_fma_f64 v[34:35], v[26:27], v[28:29], v[24:25]
	ds_write_b128 v156, v[32:35] offset:6672
.LBB0_9:
	s_or_b32 exec_lo, exec_lo, s0
	s_waitcnt lgkmcnt(0)
	s_barrier
	buffer_gl0_inv
	ds_read_b128 v[84:87], v156
	ds_read_b128 v[88:91], v156 offset:400
	ds_read_b128 v[76:79], v156 offset:800
	;; [unrolled: 1-line block ×16, first 2 shown]
	s_and_saveexec_b32 s0, vcc_lo
	s_cbranch_execz .LBB0_11
; %bb.10:
	ds_read_b128 v[0:3], v159 offset:272
	ds_read_b128 v[4:7], v159 offset:672
	;; [unrolled: 1-line block ×9, first 2 shown]
	s_waitcnt lgkmcnt(0)
	buffer_store_dword v24, off, s[60:63], 0 offset:120 ; 4-byte Folded Spill
	buffer_store_dword v25, off, s[60:63], 0 offset:124 ; 4-byte Folded Spill
	buffer_store_dword v26, off, s[60:63], 0 offset:128 ; 4-byte Folded Spill
	buffer_store_dword v27, off, s[60:63], 0 offset:132 ; 4-byte Folded Spill
	ds_read_b128 v[24:27], v159 offset:3872
	s_waitcnt lgkmcnt(0)
	buffer_store_dword v24, off, s[60:63], 0 offset:136 ; 4-byte Folded Spill
	buffer_store_dword v25, off, s[60:63], 0 offset:140 ; 4-byte Folded Spill
	buffer_store_dword v26, off, s[60:63], 0 offset:144 ; 4-byte Folded Spill
	buffer_store_dword v27, off, s[60:63], 0 offset:148 ; 4-byte Folded Spill
	ds_read_b128 v[24:27], v159 offset:4272
	;; [unrolled: 6-line block ×8, first 2 shown]
	s_waitcnt lgkmcnt(0)
	buffer_store_dword v24, off, s[60:63], 0 offset:8 ; 4-byte Folded Spill
	buffer_store_dword v25, off, s[60:63], 0 offset:12 ; 4-byte Folded Spill
	;; [unrolled: 1-line block ×4, first 2 shown]
.LBB0_11:
	s_or_b32 exec_lo, exec_lo, s0
	s_waitcnt lgkmcnt(15)
	v_add_f64 v[24:25], v[84:85], v[88:89]
	v_add_f64 v[26:27], v[86:87], v[90:91]
	s_waitcnt lgkmcnt(0)
	v_add_f64 v[98:99], v[90:91], v[94:95]
	s_mov_b32 s0, 0x370991
	s_mov_b32 s4, 0x75d4884
	;; [unrolled: 1-line block ×16, first 2 shown]
	v_add_f64 v[96:97], v[88:89], v[92:93]
	v_add_f64 v[88:89], v[88:89], -v[92:93]
	v_add_f64 v[90:91], v[90:91], -v[94:95]
	v_add_f64 v[24:25], v[24:25], v[76:77]
	v_add_f64 v[26:27], v[26:27], v[78:79]
	v_mul_f64 v[100:101], v[98:99], s[0:1]
	v_mul_f64 v[124:125], v[98:99], s[4:5]
	;; [unrolled: 1-line block ×7, first 2 shown]
	s_mov_b32 s2, 0x5d8e7cdc
	s_mov_b32 s12, 0x2a9d6da3
	;; [unrolled: 1-line block ×13, first 2 shown]
	v_add_f64 v[24:25], v[24:25], v[68:69]
	v_add_f64 v[26:27], v[26:27], v[70:71]
	s_mov_b32 s40, s12
	s_mov_b32 s19, 0xbfeca52d
	;; [unrolled: 1-line block ×19, first 2 shown]
	v_fma_f64 v[102:103], v[88:89], s[20:21], v[100:101]
	v_add_f64 v[24:25], v[24:25], v[60:61]
	v_add_f64 v[26:27], v[26:27], v[62:63]
	v_fma_f64 v[100:101], v[88:89], s[2:3], v[100:101]
	v_mul_f64 v[120:121], v[90:91], s[12:13]
	v_fma_f64 v[126:127], v[88:89], s[40:41], v[124:125]
	v_fma_f64 v[124:125], v[88:89], s[12:13], v[124:125]
	v_mul_f64 v[128:129], v[90:91], s[18:19]
	v_fma_f64 v[134:135], v[88:89], s[28:29], v[132:133]
	;; [unrolled: 3-line block ×6, first 2 shown]
	v_fma_f64 v[168:169], v[88:89], s[44:45], v[168:169]
	v_add_f64 v[102:103], v[86:87], v[102:103]
	v_add_f64 v[24:25], v[24:25], v[52:53]
	;; [unrolled: 1-line block ×4, first 2 shown]
	v_fma_f64 v[122:123], v[96:97], s[4:5], v[120:121]
	v_add_f64 v[126:127], v[86:87], v[126:127]
	v_fma_f64 v[120:121], v[96:97], s[4:5], -v[120:121]
	v_add_f64 v[124:125], v[86:87], v[124:125]
	v_fma_f64 v[130:131], v[96:97], s[16:17], v[128:129]
	v_add_f64 v[134:135], v[86:87], v[134:135]
	v_fma_f64 v[128:129], v[96:97], s[16:17], -v[128:129]
	v_add_f64 v[132:133], v[86:87], v[132:133]
	v_fma_f64 v[138:139], v[96:97], s[22:23], v[136:137]
	v_add_f64 v[142:143], v[86:87], v[142:143]
	v_fma_f64 v[136:137], v[96:97], s[22:23], -v[136:137]
	v_add_f64 v[140:141], v[86:87], v[140:141]
	v_fma_f64 v[146:147], v[96:97], s[26:27], v[144:145]
	v_add_f64 v[150:151], v[86:87], v[150:151]
	v_fma_f64 v[144:145], v[96:97], s[26:27], -v[144:145]
	v_add_f64 v[148:149], v[86:87], v[148:149]
	v_fma_f64 v[154:155], v[96:97], s[34:35], v[152:153]
	v_add_f64 v[162:163], v[86:87], v[162:163]
	v_fma_f64 v[152:153], v[96:97], s[34:35], -v[152:153]
	v_add_f64 v[24:25], v[24:25], v[44:45]
	v_add_f64 v[26:27], v[26:27], v[46:47]
	v_add_f64 v[160:161], v[86:87], v[160:161]
	v_fma_f64 v[166:167], v[96:97], s[38:39], v[164:165]
	v_add_f64 v[170:171], v[86:87], v[170:171]
	v_fma_f64 v[164:165], v[96:97], s[38:39], -v[164:165]
	v_add_f64 v[168:169], v[86:87], v[168:169]
	v_add_f64 v[122:123], v[84:85], v[122:123]
	v_add_f64 v[120:121], v[84:85], v[120:121]
	v_add_f64 v[130:131], v[84:85], v[130:131]
	v_add_f64 v[128:129], v[84:85], v[128:129]
	v_add_f64 v[138:139], v[84:85], v[138:139]
	v_add_f64 v[190:191], v[70:71], -v[74:75]
	v_add_f64 v[136:137], v[84:85], v[136:137]
	v_add_f64 v[188:189], v[68:69], -v[72:73]
	v_add_f64 v[146:147], v[84:85], v[146:147]
	v_add_nc_u32_e32 v235, 0x220, v156
	v_add_f64 v[144:145], v[84:85], v[144:145]
	v_add_nc_u32_e32 v195, 0x330, v156
	;; [unrolled: 2-line block ×3, first 2 shown]
	v_add_f64 v[152:153], v[84:85], v[152:153]
	v_add_f64 v[24:25], v[24:25], v[36:37]
	;; [unrolled: 1-line block ×23, first 2 shown]
	v_mul_f64 v[92:93], v[90:91], s[2:3]
	v_mul_f64 v[90:91], v[90:91], s[48:49]
	buffer_store_dword v24, off, s[60:63], 0 offset:784 ; 4-byte Folded Spill
	buffer_store_dword v25, off, s[60:63], 0 offset:788 ; 4-byte Folded Spill
	;; [unrolled: 1-line block ×4, first 2 shown]
	v_mul_f64 v[26:27], v[98:99], s[46:47]
	v_fma_f64 v[94:95], v[96:97], s[0:1], v[92:93]
	v_fma_f64 v[92:93], v[96:97], s[0:1], -v[92:93]
	v_fma_f64 v[24:25], v[96:97], s[46:47], v[90:91]
	v_fma_f64 v[90:91], v[96:97], s[46:47], -v[90:91]
	s_waitcnt_vscnt null, 0x0
	s_barrier
	buffer_gl0_inv
	v_fma_f64 v[98:99], v[88:89], s[52:53], v[26:27]
	v_fma_f64 v[26:27], v[88:89], s[48:49], v[26:27]
	v_add_f64 v[88:89], v[78:79], v[82:83]
	v_add_f64 v[78:79], v[78:79], -v[82:83]
	v_add_f64 v[94:95], v[84:85], v[94:95]
	v_add_f64 v[92:93], v[84:85], v[92:93]
	v_add_f64 v[24:25], v[84:85], v[24:25]
	v_add_f64 v[84:85], v[84:85], v[90:91]
	v_add_f64 v[98:99], v[86:87], v[98:99]
	v_add_f64 v[26:27], v[86:87], v[26:27]
	v_add_f64 v[86:87], v[76:77], v[80:81]
	v_add_f64 v[76:77], v[76:77], -v[80:81]
	v_mul_f64 v[80:81], v[78:79], s[12:13]
	v_mul_f64 v[90:91], v[88:89], s[4:5]
	v_fma_f64 v[82:83], v[86:87], s[4:5], v[80:81]
	v_fma_f64 v[80:81], v[86:87], s[4:5], -v[80:81]
	v_add_f64 v[82:83], v[82:83], v[94:95]
	v_fma_f64 v[94:95], v[76:77], s[40:41], v[90:91]
	v_fma_f64 v[90:91], v[76:77], s[12:13], v[90:91]
	v_add_f64 v[80:81], v[80:81], v[92:93]
	v_mul_f64 v[92:93], v[78:79], s[24:25]
	v_add_f64 v[94:95], v[94:95], v[102:103]
	v_add_f64 v[90:91], v[90:91], v[100:101]
	v_mul_f64 v[100:101], v[88:89], s[22:23]
	v_fma_f64 v[96:97], v[86:87], s[22:23], v[92:93]
	v_fma_f64 v[92:93], v[86:87], s[22:23], -v[92:93]
	v_fma_f64 v[102:103], v[76:77], s[56:57], v[100:101]
	v_fma_f64 v[100:101], v[76:77], s[24:25], v[100:101]
	v_add_f64 v[92:93], v[92:93], v[120:121]
	v_mul_f64 v[120:121], v[78:79], s[36:37]
	v_add_f64 v[96:97], v[96:97], v[122:123]
	v_add_f64 v[102:103], v[102:103], v[126:127]
	;; [unrolled: 1-line block ×3, first 2 shown]
	v_mul_f64 v[124:125], v[88:89], s[34:35]
	v_fma_f64 v[122:123], v[86:87], s[34:35], v[120:121]
	v_fma_f64 v[120:121], v[86:87], s[34:35], -v[120:121]
	v_fma_f64 v[126:127], v[76:77], s[54:55], v[124:125]
	v_fma_f64 v[124:125], v[76:77], s[36:37], v[124:125]
	v_add_f64 v[120:121], v[120:121], v[128:129]
	v_add_f64 v[122:123], v[122:123], v[130:131]
	;; [unrolled: 1-line block ×4, first 2 shown]
	v_mul_f64 v[124:125], v[78:79], s[48:49]
	v_fma_f64 v[126:127], v[86:87], s[46:47], v[124:125]
	v_fma_f64 v[124:125], v[86:87], s[46:47], -v[124:125]
	v_add_f64 v[138:139], v[126:127], v[138:139]
	v_mul_f64 v[126:127], v[88:89], s[46:47]
	v_add_f64 v[136:137], v[124:125], v[136:137]
	v_fma_f64 v[124:125], v[76:77], s[48:49], v[126:127]
	v_fma_f64 v[128:129], v[76:77], s[52:53], v[126:127]
	v_add_f64 v[140:141], v[124:125], v[140:141]
	v_mul_f64 v[124:125], v[78:79], s[50:51]
	v_add_f64 v[172:173], v[128:129], v[142:143]
	v_fma_f64 v[126:127], v[86:87], s[38:39], v[124:125]
	v_fma_f64 v[124:125], v[86:87], s[38:39], -v[124:125]
	v_add_f64 v[174:175], v[126:127], v[146:147]
	v_mul_f64 v[126:127], v[88:89], s[38:39]
	v_add_f64 v[178:179], v[124:125], v[144:145]
	v_fma_f64 v[124:125], v[76:77], s[50:51], v[126:127]
	v_fma_f64 v[128:129], v[76:77], s[44:45], v[126:127]
	v_add_f64 v[180:181], v[124:125], v[148:149]
	v_mul_f64 v[124:125], v[78:79], s[42:43]
	v_add_f64 v[176:177], v[128:129], v[150:151]
	v_fma_f64 v[126:127], v[86:87], s[26:27], v[124:125]
	v_fma_f64 v[124:125], v[86:87], s[26:27], -v[124:125]
	v_add_f64 v[182:183], v[126:127], v[154:155]
	v_mul_f64 v[126:127], v[88:89], s[26:27]
	v_add_f64 v[184:185], v[124:125], v[152:153]
	v_fma_f64 v[124:125], v[76:77], s[42:43], v[126:127]
	v_fma_f64 v[128:129], v[76:77], s[30:31], v[126:127]
	v_add_f64 v[160:161], v[124:125], v[160:161]
	v_mul_f64 v[124:125], v[78:79], s[28:29]
	v_mul_f64 v[78:79], v[78:79], s[20:21]
	v_add_f64 v[162:163], v[128:129], v[162:163]
	v_fma_f64 v[126:127], v[86:87], s[16:17], v[124:125]
	v_fma_f64 v[124:125], v[86:87], s[16:17], -v[124:125]
	v_add_f64 v[166:167], v[126:127], v[166:167]
	v_mul_f64 v[126:127], v[88:89], s[16:17]
	v_add_f64 v[164:165], v[124:125], v[164:165]
	v_mul_f64 v[88:89], v[88:89], s[0:1]
	v_fma_f64 v[124:125], v[76:77], s[28:29], v[126:127]
	v_fma_f64 v[128:129], v[76:77], s[18:19], v[126:127]
	v_add_f64 v[168:169], v[124:125], v[168:169]
	v_fma_f64 v[124:125], v[86:87], s[0:1], v[78:79]
	v_fma_f64 v[78:79], v[86:87], s[0:1], -v[78:79]
	v_add_f64 v[170:171], v[128:129], v[170:171]
	v_add_f64 v[24:25], v[124:125], v[24:25]
	v_fma_f64 v[124:125], v[76:77], s[2:3], v[88:89]
	v_fma_f64 v[76:77], v[76:77], s[20:21], v[88:89]
	v_add_f64 v[88:89], v[68:69], v[72:73]
	v_mul_f64 v[68:69], v[190:191], s[18:19]
	v_add_f64 v[86:87], v[78:79], v[84:85]
	v_add_f64 v[84:85], v[70:71], v[74:75]
	v_mul_f64 v[78:79], v[190:191], s[24:25]
	v_add_f64 v[186:187], v[124:125], v[98:99]
	v_add_f64 v[26:27], v[76:77], v[26:27]
	v_fma_f64 v[70:71], v[88:89], s[16:17], v[68:69]
	v_fma_f64 v[68:69], v[88:89], s[16:17], -v[68:69]
	v_fma_f64 v[74:75], v[88:89], s[22:23], v[78:79]
	v_fma_f64 v[78:79], v[88:89], s[22:23], -v[78:79]
	v_add_f64 v[192:193], v[70:71], v[82:83]
	v_mul_f64 v[70:71], v[84:85], s[16:17]
	v_add_f64 v[144:145], v[68:69], v[80:81]
	v_mul_f64 v[80:81], v[84:85], s[22:23]
	v_add_f64 v[74:75], v[74:75], v[166:167]
	v_add_f64 v[78:79], v[78:79], v[164:165]
	v_fma_f64 v[68:69], v[188:189], s[18:19], v[70:71]
	v_fma_f64 v[72:73], v[188:189], s[28:29], v[70:71]
	;; [unrolled: 1-line block ×4, first 2 shown]
	v_add_f64 v[146:147], v[68:69], v[90:91]
	v_mul_f64 v[68:69], v[190:191], s[36:37]
	v_add_f64 v[142:143], v[72:73], v[94:95]
	v_add_f64 v[80:81], v[80:81], v[168:169]
	;; [unrolled: 1-line block ×3, first 2 shown]
	v_fma_f64 v[70:71], v[88:89], s[34:35], v[68:69]
	v_fma_f64 v[68:69], v[88:89], s[34:35], -v[68:69]
	v_add_f64 v[124:125], v[70:71], v[96:97]
	v_mul_f64 v[70:71], v[84:85], s[34:35]
	v_add_f64 v[128:129], v[68:69], v[92:93]
	v_fma_f64 v[68:69], v[188:189], s[36:37], v[70:71]
	v_fma_f64 v[72:73], v[188:189], s[54:55], v[70:71]
	v_add_f64 v[130:131], v[68:69], v[100:101]
	v_mul_f64 v[68:69], v[190:191], s[52:53]
	v_add_f64 v[126:127], v[72:73], v[102:103]
	v_fma_f64 v[70:71], v[88:89], s[46:47], v[68:69]
	v_fma_f64 v[68:69], v[88:89], s[46:47], -v[68:69]
	v_add_f64 v[154:155], v[70:71], v[122:123]
	v_mul_f64 v[70:71], v[84:85], s[46:47]
	v_add_f64 v[150:151], v[68:69], v[120:121]
	v_fma_f64 v[68:69], v[188:189], s[52:53], v[70:71]
	v_fma_f64 v[72:73], v[188:189], s[48:49], v[70:71]
	v_add_f64 v[152:153], v[68:69], v[132:133]
	v_mul_f64 v[68:69], v[190:191], s[42:43]
	v_add_f64 v[148:149], v[72:73], v[134:135]
	v_mul_f64 v[132:133], v[190:191], s[44:45]
	v_add_f64 v[134:135], v[60:61], -v[64:65]
	v_fma_f64 v[70:71], v[88:89], s[26:27], v[68:69]
	v_fma_f64 v[68:69], v[88:89], s[26:27], -v[68:69]
	v_fma_f64 v[82:83], v[88:89], s[38:39], v[132:133]
	v_add_f64 v[122:123], v[70:71], v[138:139]
	v_mul_f64 v[70:71], v[84:85], s[26:27]
	v_add_f64 v[102:103], v[68:69], v[136:137]
	v_add_f64 v[82:83], v[82:83], v[24:25]
	v_mul_f64 v[24:25], v[84:85], s[38:39]
	v_add_f64 v[138:139], v[62:63], -v[66:67]
	v_add_f64 v[136:137], v[62:63], v[66:67]
	v_fma_f64 v[68:69], v[188:189], s[42:43], v[70:71]
	v_fma_f64 v[72:73], v[188:189], s[30:31], v[70:71]
	v_add_f64 v[120:121], v[68:69], v[140:141]
	v_mul_f64 v[68:69], v[190:191], s[40:41]
	v_add_f64 v[100:101], v[72:73], v[172:173]
	v_fma_f64 v[70:71], v[88:89], s[4:5], v[68:69]
	v_fma_f64 v[68:69], v[88:89], s[4:5], -v[68:69]
	v_add_f64 v[98:99], v[70:71], v[174:175]
	v_mul_f64 v[70:71], v[84:85], s[4:5]
	v_add_f64 v[94:95], v[68:69], v[178:179]
	v_fma_f64 v[72:73], v[188:189], s[12:13], v[70:71]
	v_fma_f64 v[68:69], v[188:189], s[40:41], v[70:71]
	v_mul_f64 v[70:71], v[190:191], s[2:3]
	v_add_f64 v[92:93], v[72:73], v[176:177]
	v_add_f64 v[96:97], v[68:69], v[180:181]
	v_fma_f64 v[68:69], v[88:89], s[0:1], v[70:71]
	v_mul_f64 v[72:73], v[84:85], s[0:1]
	v_fma_f64 v[70:71], v[88:89], s[0:1], -v[70:71]
	v_fma_f64 v[84:85], v[188:189], s[50:51], v[24:25]
	v_fma_f64 v[88:89], v[88:89], s[38:39], -v[132:133]
	v_fma_f64 v[24:25], v[188:189], s[44:45], v[24:25]
	v_add_f64 v[132:133], v[60:61], v[64:65]
	v_add_f64 v[90:91], v[68:69], v[182:183]
	v_fma_f64 v[68:69], v[188:189], s[20:21], v[72:73]
	v_add_f64 v[70:71], v[70:71], v[184:185]
	v_fma_f64 v[72:73], v[188:189], s[2:3], v[72:73]
	v_add_f64 v[86:87], v[88:89], v[86:87]
	v_add_f64 v[88:89], v[24:25], v[26:27]
	v_mul_f64 v[24:25], v[138:139], s[24:25]
	v_add_f64 v[84:85], v[84:85], v[186:187]
	v_add_f64 v[68:69], v[68:69], v[162:163]
	;; [unrolled: 1-line block ×3, first 2 shown]
	v_fma_f64 v[26:27], v[132:133], s[22:23], v[24:25]
	v_fma_f64 v[24:25], v[132:133], s[22:23], -v[24:25]
	v_add_f64 v[140:141], v[26:27], v[192:193]
	v_mul_f64 v[26:27], v[136:137], s[22:23]
	v_add_f64 v[144:145], v[24:25], v[144:145]
	v_fma_f64 v[24:25], v[134:135], s[24:25], v[26:27]
	v_fma_f64 v[60:61], v[134:135], s[56:57], v[26:27]
	v_add_f64 v[146:147], v[24:25], v[146:147]
	v_mul_f64 v[24:25], v[138:139], s[48:49]
	v_add_f64 v[142:143], v[60:61], v[142:143]
	v_fma_f64 v[26:27], v[132:133], s[46:47], v[24:25]
	v_fma_f64 v[24:25], v[132:133], s[46:47], -v[24:25]
	v_add_f64 v[124:125], v[26:27], v[124:125]
	v_mul_f64 v[26:27], v[136:137], s[46:47]
	v_add_f64 v[128:129], v[24:25], v[128:129]
	v_fma_f64 v[24:25], v[134:135], s[48:49], v[26:27]
	v_fma_f64 v[60:61], v[134:135], s[52:53], v[26:27]
	v_add_f64 v[130:131], v[24:25], v[130:131]
	v_mul_f64 v[24:25], v[138:139], s[42:43]
	v_add_f64 v[126:127], v[60:61], v[126:127]
	v_fma_f64 v[26:27], v[132:133], s[26:27], v[24:25]
	v_fma_f64 v[24:25], v[132:133], s[26:27], -v[24:25]
	v_add_f64 v[60:61], v[26:27], v[154:155]
	v_mul_f64 v[26:27], v[136:137], s[26:27]
	v_add_f64 v[64:65], v[24:25], v[150:151]
	v_add_f64 v[150:151], v[44:45], -v[48:49]
	v_fma_f64 v[24:25], v[134:135], s[42:43], v[26:27]
	v_fma_f64 v[62:63], v[134:135], s[30:31], v[26:27]
	v_add_f64 v[66:67], v[24:25], v[152:153]
	v_mul_f64 v[24:25], v[138:139], s[20:21]
	v_add_f64 v[62:63], v[62:63], v[148:149]
	v_fma_f64 v[26:27], v[132:133], s[0:1], v[24:25]
	v_fma_f64 v[24:25], v[132:133], s[0:1], -v[24:25]
	v_add_f64 v[26:27], v[26:27], v[122:123]
	v_mul_f64 v[122:123], v[136:137], s[0:1]
	v_add_f64 v[24:25], v[24:25], v[102:103]
	v_fma_f64 v[102:103], v[134:135], s[20:21], v[122:123]
	v_fma_f64 v[148:149], v[134:135], s[2:3], v[122:123]
	v_add_f64 v[102:103], v[102:103], v[120:121]
	v_mul_f64 v[120:121], v[138:139], s[18:19]
	v_add_f64 v[100:101], v[148:149], v[100:101]
	v_fma_f64 v[122:123], v[132:133], s[16:17], v[120:121]
	v_fma_f64 v[120:121], v[132:133], s[16:17], -v[120:121]
	v_add_f64 v[98:99], v[122:123], v[98:99]
	v_mul_f64 v[122:123], v[136:137], s[16:17]
	v_add_f64 v[94:95], v[120:121], v[94:95]
	v_fma_f64 v[120:121], v[134:135], s[18:19], v[122:123]
	v_fma_f64 v[148:149], v[134:135], s[28:29], v[122:123]
	v_add_f64 v[96:97], v[120:121], v[96:97]
	v_mul_f64 v[120:121], v[138:139], s[44:45]
	v_add_f64 v[92:93], v[148:149], v[92:93]
	v_fma_f64 v[122:123], v[132:133], s[38:39], v[120:121]
	v_add_f64 v[90:91], v[122:123], v[90:91]
	v_mul_f64 v[122:123], v[136:137], s[38:39]
	v_fma_f64 v[148:149], v[134:135], s[50:51], v[122:123]
	v_add_f64 v[148:149], v[148:149], v[68:69]
	v_fma_f64 v[68:69], v[132:133], s[38:39], -v[120:121]
	v_add_f64 v[120:121], v[68:69], v[70:71]
	v_fma_f64 v[68:69], v[134:135], s[44:45], v[122:123]
	v_add_f64 v[122:123], v[68:69], v[72:73]
	v_mul_f64 v[68:69], v[138:139], s[54:55]
	v_fma_f64 v[70:71], v[132:133], s[34:35], v[68:69]
	v_fma_f64 v[68:69], v[132:133], s[34:35], -v[68:69]
	v_add_f64 v[74:75], v[70:71], v[74:75]
	v_mul_f64 v[70:71], v[136:137], s[34:35]
	v_add_f64 v[78:79], v[68:69], v[78:79]
	v_fma_f64 v[68:69], v[134:135], s[54:55], v[70:71]
	v_fma_f64 v[72:73], v[134:135], s[36:37], v[70:71]
	v_add_f64 v[80:81], v[68:69], v[80:81]
	v_mul_f64 v[68:69], v[138:139], s[40:41]
	v_add_f64 v[76:77], v[72:73], v[76:77]
	v_fma_f64 v[70:71], v[132:133], s[4:5], v[68:69]
	v_fma_f64 v[68:69], v[132:133], s[4:5], -v[68:69]
	v_add_f64 v[132:133], v[52:53], v[56:57]
	v_add_f64 v[52:53], v[52:53], -v[56:57]
	v_add_f64 v[82:83], v[70:71], v[82:83]
	v_mul_f64 v[70:71], v[136:137], s[4:5]
	v_add_f64 v[86:87], v[68:69], v[86:87]
	v_fma_f64 v[72:73], v[134:135], s[12:13], v[70:71]
	v_fma_f64 v[68:69], v[134:135], s[40:41], v[70:71]
	v_add_f64 v[134:135], v[54:55], v[58:59]
	v_add_f64 v[54:55], v[54:55], -v[58:59]
	v_add_f64 v[84:85], v[72:73], v[84:85]
	v_add_f64 v[88:89], v[68:69], v[88:89]
	v_mul_f64 v[72:73], v[134:135], s[46:47]
	v_mul_f64 v[56:57], v[54:55], s[30:31]
	v_fma_f64 v[58:59], v[132:133], s[26:27], v[56:57]
	v_fma_f64 v[56:57], v[132:133], s[26:27], -v[56:57]
	v_add_f64 v[136:137], v[58:59], v[140:141]
	v_mul_f64 v[58:59], v[134:135], s[26:27]
	v_add_f64 v[56:57], v[56:57], v[144:145]
	v_fma_f64 v[68:69], v[52:53], s[42:43], v[58:59]
	v_fma_f64 v[58:59], v[52:53], s[30:31], v[58:59]
	v_add_f64 v[138:139], v[68:69], v[142:143]
	v_add_f64 v[140:141], v[58:59], v[146:147]
	v_mul_f64 v[58:59], v[54:55], s[50:51]
	v_add_f64 v[146:147], v[44:45], v[48:49]
	v_fma_f64 v[68:69], v[132:133], s[38:39], v[58:59]
	v_fma_f64 v[58:59], v[132:133], s[38:39], -v[58:59]
	v_add_f64 v[124:125], v[68:69], v[124:125]
	v_mul_f64 v[68:69], v[134:135], s[38:39]
	v_add_f64 v[128:129], v[58:59], v[128:129]
	v_fma_f64 v[70:71], v[52:53], s[44:45], v[68:69]
	v_fma_f64 v[58:59], v[52:53], s[50:51], v[68:69]
	v_mul_f64 v[68:69], v[54:55], s[40:41]
	v_add_f64 v[126:127], v[70:71], v[126:127]
	v_add_f64 v[130:131], v[58:59], v[130:131]
	v_fma_f64 v[58:59], v[132:133], s[4:5], v[68:69]
	v_mul_f64 v[70:71], v[134:135], s[4:5]
	v_add_f64 v[58:59], v[58:59], v[60:61]
	v_fma_f64 v[60:61], v[52:53], s[12:13], v[70:71]
	v_add_f64 v[60:61], v[60:61], v[62:63]
	v_fma_f64 v[62:63], v[132:133], s[4:5], -v[68:69]
	v_add_f64 v[62:63], v[62:63], v[64:65]
	v_fma_f64 v[64:65], v[52:53], s[40:41], v[70:71]
	v_add_f64 v[64:65], v[64:65], v[66:67]
	v_mul_f64 v[66:67], v[54:55], s[18:19]
	v_fma_f64 v[68:69], v[132:133], s[16:17], v[66:67]
	v_fma_f64 v[66:67], v[132:133], s[16:17], -v[66:67]
	v_add_f64 v[26:27], v[68:69], v[26:27]
	v_mul_f64 v[68:69], v[134:135], s[16:17]
	v_add_f64 v[24:25], v[66:67], v[24:25]
	v_fma_f64 v[70:71], v[52:53], s[28:29], v[68:69]
	v_fma_f64 v[66:67], v[52:53], s[18:19], v[68:69]
	;; [unrolled: 1-line block ×4, first 2 shown]
	v_add_f64 v[100:101], v[70:71], v[100:101]
	v_mul_f64 v[70:71], v[54:55], s[48:49]
	v_add_f64 v[102:103], v[66:67], v[102:103]
	v_add_f64 v[68:69], v[68:69], v[92:93]
	v_mul_f64 v[92:93], v[54:55], s[56:57]
	v_add_f64 v[72:73], v[72:73], v[96:97]
	v_fma_f64 v[66:67], v[132:133], s[46:47], v[70:71]
	v_fma_f64 v[70:71], v[132:133], s[46:47], -v[70:71]
	v_add_f64 v[66:67], v[66:67], v[98:99]
	v_add_f64 v[70:71], v[70:71], v[94:95]
	v_fma_f64 v[94:95], v[132:133], s[22:23], v[92:93]
	v_fma_f64 v[92:93], v[132:133], s[22:23], -v[92:93]
	v_mul_f64 v[98:99], v[54:55], s[2:3]
	v_mul_f64 v[54:55], v[54:55], s[36:37]
	v_add_f64 v[90:91], v[94:95], v[90:91]
	v_mul_f64 v[94:95], v[134:135], s[22:23]
	v_add_f64 v[92:93], v[92:93], v[120:121]
	v_fma_f64 v[120:121], v[132:133], s[0:1], v[98:99]
	v_fma_f64 v[96:97], v[52:53], s[24:25], v[94:95]
	;; [unrolled: 1-line block ×3, first 2 shown]
	v_add_f64 v[120:121], v[120:121], v[74:75]
	v_mul_f64 v[74:75], v[134:135], s[0:1]
	v_add_f64 v[96:97], v[96:97], v[148:149]
	v_add_f64 v[94:95], v[94:95], v[122:123]
	;; [unrolled: 1-line block ×3, first 2 shown]
	v_fma_f64 v[122:123], v[52:53], s[20:21], v[74:75]
	v_fma_f64 v[74:75], v[52:53], s[2:3], v[74:75]
	v_add_f64 v[122:123], v[122:123], v[76:77]
	v_add_f64 v[80:81], v[74:75], v[80:81]
	v_fma_f64 v[74:75], v[132:133], s[34:35], v[54:55]
	v_fma_f64 v[76:77], v[132:133], s[0:1], -v[98:99]
	v_fma_f64 v[54:55], v[132:133], s[34:35], -v[54:55]
	v_add_f64 v[142:143], v[74:75], v[82:83]
	v_mul_f64 v[74:75], v[134:135], s[34:35]
	v_add_f64 v[98:99], v[76:77], v[78:79]
	v_add_f64 v[132:133], v[54:55], v[86:87]
	v_fma_f64 v[76:77], v[52:53], s[54:55], v[74:75]
	v_fma_f64 v[52:53], v[52:53], s[36:37], v[74:75]
	v_add_f64 v[134:135], v[76:77], v[84:85]
	v_add_f64 v[144:145], v[52:53], v[88:89]
	v_add_f64 v[88:89], v[46:47], -v[50:51]
	v_mul_f64 v[44:45], v[88:89], s[36:37]
	v_fma_f64 v[46:47], v[146:147], s[34:35], v[44:45]
	v_fma_f64 v[44:45], v[146:147], s[34:35], -v[44:45]
	v_add_f64 v[136:137], v[46:47], v[136:137]
	v_mul_f64 v[46:47], v[148:149], s[34:35]
	v_add_f64 v[152:153], v[44:45], v[56:57]
	v_fma_f64 v[44:45], v[150:151], s[36:37], v[46:47]
	v_fma_f64 v[48:49], v[150:151], s[54:55], v[46:47]
	v_add_f64 v[140:141], v[44:45], v[140:141]
	v_mul_f64 v[44:45], v[88:89], s[42:43]
	v_add_f64 v[138:139], v[48:49], v[138:139]
	v_fma_f64 v[46:47], v[146:147], s[26:27], v[44:45]
	v_fma_f64 v[44:45], v[146:147], s[26:27], -v[44:45]
	v_add_f64 v[50:51], v[46:47], v[124:125]
	v_mul_f64 v[46:47], v[148:149], s[26:27]
	v_add_f64 v[54:55], v[44:45], v[128:129]
	v_fma_f64 v[44:45], v[150:151], s[42:43], v[46:47]
	v_fma_f64 v[48:49], v[150:151], s[30:31], v[46:47]
	v_add_f64 v[56:57], v[44:45], v[130:131]
	v_mul_f64 v[44:45], v[88:89], s[2:3]
	v_add_f64 v[52:53], v[48:49], v[126:127]
	;; [unrolled: 10-line block ×3, first 2 shown]
	v_fma_f64 v[46:47], v[146:147], s[38:39], v[44:45]
	v_fma_f64 v[44:45], v[146:147], s[38:39], -v[44:45]
	v_add_f64 v[26:27], v[46:47], v[26:27]
	v_mul_f64 v[46:47], v[148:149], s[38:39]
	v_add_f64 v[24:25], v[44:45], v[24:25]
	v_fma_f64 v[48:49], v[150:151], s[50:51], v[46:47]
	v_fma_f64 v[44:45], v[150:151], s[44:45], v[46:47]
	v_mul_f64 v[46:47], v[88:89], s[56:57]
	v_add_f64 v[128:129], v[48:49], v[100:101]
	v_add_f64 v[130:131], v[44:45], v[102:103]
	v_fma_f64 v[44:45], v[146:147], s[22:23], v[46:47]
	v_mul_f64 v[48:49], v[148:149], s[22:23]
	v_fma_f64 v[46:47], v[146:147], s[22:23], -v[46:47]
	v_add_f64 v[100:101], v[36:37], v[40:41]
	v_add_f64 v[102:103], v[36:37], -v[40:41]
	v_add_f64 v[78:79], v[44:45], v[66:67]
	v_fma_f64 v[44:45], v[150:151], s[24:25], v[48:49]
	v_mul_f64 v[66:67], v[88:89], s[12:13]
	v_fma_f64 v[48:49], v[150:151], s[56:57], v[48:49]
	v_add_f64 v[46:47], v[46:47], v[70:71]
	v_add_f64 v[44:45], v[44:45], v[68:69]
	v_fma_f64 v[60:61], v[146:147], s[4:5], v[66:67]
	v_mul_f64 v[68:69], v[148:149], s[4:5]
	v_fma_f64 v[66:67], v[146:147], s[4:5], -v[66:67]
	v_add_f64 v[48:49], v[48:49], v[72:73]
	v_add_f64 v[60:61], v[60:61], v[90:91]
	v_fma_f64 v[62:63], v[150:151], s[40:41], v[68:69]
	v_add_f64 v[72:73], v[66:67], v[92:93]
	v_fma_f64 v[66:67], v[150:151], s[12:13], v[68:69]
	v_add_f64 v[62:63], v[62:63], v[96:97]
	v_add_f64 v[74:75], v[66:67], v[94:95]
	v_mul_f64 v[66:67], v[88:89], s[48:49]
	v_fma_f64 v[68:69], v[146:147], s[46:47], v[66:67]
	v_fma_f64 v[66:67], v[146:147], s[46:47], -v[66:67]
	v_add_f64 v[76:77], v[68:69], v[120:121]
	v_mul_f64 v[68:69], v[148:149], s[46:47]
	v_add_f64 v[84:85], v[66:67], v[98:99]
	v_fma_f64 v[66:67], v[150:151], s[48:49], v[68:69]
	v_fma_f64 v[70:71], v[150:151], s[52:53], v[68:69]
	v_add_f64 v[86:87], v[66:67], v[80:81]
	v_mul_f64 v[66:67], v[88:89], s[28:29]
	v_add_f64 v[82:83], v[70:71], v[122:123]
	v_fma_f64 v[68:69], v[146:147], s[16:17], v[66:67]
	v_fma_f64 v[66:67], v[146:147], s[16:17], -v[66:67]
	v_add_f64 v[88:89], v[68:69], v[142:143]
	v_mul_f64 v[68:69], v[148:149], s[16:17]
	v_add_f64 v[92:93], v[66:67], v[132:133]
	v_add_f64 v[132:133], v[38:39], v[42:43]
	v_fma_f64 v[70:71], v[150:151], s[18:19], v[68:69]
	v_fma_f64 v[66:67], v[150:151], s[28:29], v[68:69]
	v_mul_f64 v[40:41], v[132:133], s[38:39]
	v_add_f64 v[90:91], v[70:71], v[134:135]
	v_add_f64 v[134:135], v[38:39], -v[42:43]
	v_add_f64 v[94:95], v[66:67], v[144:145]
	v_mul_f64 v[66:67], v[134:135], s[28:29]
	v_mul_f64 v[38:39], v[134:135], s[44:45]
	v_fma_f64 v[42:43], v[100:101], s[16:17], v[66:67]
	v_fma_f64 v[36:37], v[100:101], s[38:39], v[38:39]
	v_fma_f64 v[38:39], v[100:101], s[38:39], -v[38:39]
	v_add_f64 v[120:121], v[42:43], v[50:51]
	v_mul_f64 v[50:51], v[132:133], s[16:17]
	v_add_f64 v[136:137], v[36:37], v[136:137]
	v_fma_f64 v[36:37], v[102:103], s[50:51], v[40:41]
	v_fma_f64 v[40:41], v[102:103], s[44:45], v[40:41]
	v_add_f64 v[38:39], v[38:39], v[152:153]
	v_fma_f64 v[42:43], v[102:103], s[18:19], v[50:51]
	v_fma_f64 v[50:51], v[102:103], s[28:29], v[50:51]
	v_add_f64 v[36:37], v[36:37], v[138:139]
	v_add_f64 v[40:41], v[40:41], v[140:141]
	;; [unrolled: 1-line block ×3, first 2 shown]
	v_fma_f64 v[52:53], v[100:101], s[16:17], -v[66:67]
	v_add_f64 v[98:99], v[50:51], v[56:57]
	v_mul_f64 v[50:51], v[134:135], s[24:25]
	v_add_f64 v[96:97], v[52:53], v[54:55]
	v_fma_f64 v[52:53], v[100:101], s[22:23], v[50:51]
	v_fma_f64 v[50:51], v[100:101], s[22:23], -v[50:51]
	v_add_f64 v[122:123], v[52:53], v[58:59]
	v_mul_f64 v[52:53], v[132:133], s[22:23]
	v_add_f64 v[56:57], v[50:51], v[126:127]
	v_fma_f64 v[50:51], v[102:103], s[24:25], v[52:53]
	v_fma_f64 v[54:55], v[102:103], s[56:57], v[52:53]
	v_add_f64 v[58:59], v[50:51], v[64:65]
	v_mul_f64 v[50:51], v[134:135], s[54:55]
	v_add_f64 v[54:55], v[54:55], v[124:125]
	v_fma_f64 v[52:53], v[100:101], s[34:35], v[50:51]
	v_fma_f64 v[50:51], v[100:101], s[34:35], -v[50:51]
	v_add_f64 v[70:71], v[52:53], v[26:27]
	v_mul_f64 v[26:27], v[132:133], s[34:35]
	v_add_f64 v[66:67], v[50:51], v[24:25]
	v_fma_f64 v[24:25], v[102:103], s[54:55], v[26:27]
	v_fma_f64 v[52:53], v[102:103], s[36:37], v[26:27]
	v_add_f64 v[68:69], v[24:25], v[130:131]
	v_mul_f64 v[24:25], v[134:135], s[2:3]
	v_add_f64 v[64:65], v[52:53], v[128:129]
	v_fma_f64 v[26:27], v[100:101], s[0:1], v[24:25]
	v_fma_f64 v[24:25], v[100:101], s[0:1], -v[24:25]
	v_add_f64 v[80:81], v[26:27], v[78:79]
	v_mul_f64 v[26:27], v[132:133], s[0:1]
	v_add_f64 v[126:127], v[24:25], v[46:47]
	v_fma_f64 v[50:51], v[102:103], s[20:21], v[26:27]
	v_fma_f64 v[24:25], v[102:103], s[2:3], v[26:27]
	v_add_f64 v[124:125], v[50:51], v[44:45]
	v_mul_f64 v[44:45], v[132:133], s[46:47]
	v_add_f64 v[128:129], v[24:25], v[48:49]
	v_mul_f64 v[24:25], v[134:135], s[48:49]
	v_add_f64 v[50:51], v[28:29], v[32:33]
	v_fma_f64 v[46:47], v[102:103], s[52:53], v[44:45]
	v_fma_f64 v[44:45], v[102:103], s[48:49], v[44:45]
	;; [unrolled: 1-line block ×3, first 2 shown]
	v_fma_f64 v[24:25], v[100:101], s[46:47], -v[24:25]
	v_add_f64 v[130:131], v[46:47], v[62:63]
	v_add_f64 v[138:139], v[44:45], v[74:75]
	v_mul_f64 v[44:45], v[134:135], s[40:41]
	v_add_f64 v[26:27], v[26:27], v[60:61]
	v_add_f64 v[24:25], v[24:25], v[72:73]
	;; [unrolled: 1-line block ×3, first 2 shown]
	v_fma_f64 v[46:47], v[100:101], s[4:5], v[44:45]
	v_fma_f64 v[44:45], v[100:101], s[4:5], -v[44:45]
	v_add_f64 v[78:79], v[46:47], v[76:77]
	v_mul_f64 v[46:47], v[132:133], s[4:5]
	v_add_f64 v[74:75], v[44:45], v[84:85]
	v_fma_f64 v[44:45], v[102:103], s[40:41], v[46:47]
	v_fma_f64 v[48:49], v[102:103], s[12:13], v[46:47]
	v_add_f64 v[76:77], v[44:45], v[86:87]
	v_mul_f64 v[44:45], v[134:135], s[30:31]
	v_add_f64 v[72:73], v[48:49], v[82:83]
	v_fma_f64 v[46:47], v[100:101], s[26:27], v[44:45]
	v_fma_f64 v[44:45], v[100:101], s[26:27], -v[44:45]
	v_add_f64 v[60:61], v[46:47], v[88:89]
	v_mul_f64 v[46:47], v[132:133], s[26:27]
	v_mul_f64 v[88:89], v[62:63], s[38:39]
	v_fma_f64 v[48:49], v[102:103], s[42:43], v[46:47]
	v_add_f64 v[52:53], v[48:49], v[90:91]
	v_add_f64 v[48:49], v[44:45], v[92:93]
	v_fma_f64 v[44:45], v[102:103], s[30:31], v[46:47]
	v_add_f64 v[102:103], v[30:31], -v[34:35]
	v_add_f64 v[46:47], v[28:29], -v[32:33]
	v_add_f64 v[44:45], v[44:45], v[94:95]
	v_mul_f64 v[28:29], v[102:103], s[48:49]
	v_mul_f64 v[86:87], v[102:103], s[44:45]
	v_fma_f64 v[84:85], v[46:47], s[50:51], v[88:89]
	v_fma_f64 v[30:31], v[50:51], s[46:47], v[28:29]
	v_fma_f64 v[28:29], v[50:51], s[46:47], -v[28:29]
	v_add_f64 v[84:85], v[84:85], v[54:55]
	v_fma_f64 v[54:55], v[50:51], s[38:39], -v[86:87]
	v_add_f64 v[32:33], v[30:31], v[136:137]
	v_mul_f64 v[30:31], v[62:63], s[46:47]
	v_add_f64 v[28:29], v[28:29], v[38:39]
	v_add_f64 v[54:55], v[54:55], v[56:57]
	v_fma_f64 v[56:57], v[46:47], s[44:45], v[88:89]
	v_fma_f64 v[34:35], v[46:47], s[52:53], v[30:31]
	;; [unrolled: 1-line block ×3, first 2 shown]
	v_add_f64 v[56:57], v[56:57], v[58:59]
	v_mul_f64 v[58:59], v[102:103], s[40:41]
	v_add_f64 v[34:35], v[34:35], v[36:37]
	v_mul_f64 v[36:37], v[102:103], s[20:21]
	v_add_f64 v[30:31], v[30:31], v[40:41]
	v_fma_f64 v[38:39], v[50:51], s[0:1], v[36:37]
	v_fma_f64 v[36:37], v[50:51], s[0:1], -v[36:37]
	v_add_f64 v[40:41], v[38:39], v[120:121]
	v_mul_f64 v[38:39], v[62:63], s[0:1]
	v_add_f64 v[36:37], v[36:37], v[96:97]
	v_fma_f64 v[82:83], v[46:47], s[2:3], v[38:39]
	v_fma_f64 v[38:39], v[46:47], s[20:21], v[38:39]
	v_add_f64 v[42:43], v[82:83], v[42:43]
	v_fma_f64 v[82:83], v[50:51], s[38:39], v[86:87]
	v_fma_f64 v[86:87], v[50:51], s[4:5], v[58:59]
	v_fma_f64 v[58:59], v[50:51], s[4:5], -v[58:59]
	v_add_f64 v[38:39], v[38:39], v[98:99]
	v_add_f64 v[82:83], v[82:83], v[122:123]
	;; [unrolled: 1-line block ×3, first 2 shown]
	v_mul_f64 v[70:71], v[62:63], s[4:5]
	v_fma_f64 v[88:89], v[46:47], s[12:13], v[70:71]
	v_add_f64 v[88:89], v[88:89], v[64:65]
	v_add_f64 v[64:65], v[58:59], v[66:67]
	v_fma_f64 v[58:59], v[46:47], s[40:41], v[70:71]
	v_add_f64 v[66:67], v[58:59], v[68:69]
	v_mul_f64 v[58:59], v[102:103], s[36:37]
	v_fma_f64 v[68:69], v[50:51], s[34:35], v[58:59]
	v_fma_f64 v[58:59], v[50:51], s[34:35], -v[58:59]
	v_add_f64 v[68:69], v[68:69], v[80:81]
	v_mul_f64 v[80:81], v[62:63], s[34:35]
	v_add_f64 v[90:91], v[58:59], v[126:127]
	v_fma_f64 v[58:59], v[46:47], s[36:37], v[80:81]
	v_fma_f64 v[70:71], v[46:47], s[54:55], v[80:81]
	v_add_f64 v[92:93], v[58:59], v[128:129]
	v_mul_f64 v[58:59], v[102:103], s[28:29]
	v_add_f64 v[70:71], v[70:71], v[124:125]
	v_fma_f64 v[80:81], v[50:51], s[16:17], v[58:59]
	v_fma_f64 v[58:59], v[50:51], s[16:17], -v[58:59]
	v_add_f64 v[94:95], v[80:81], v[26:27]
	v_mul_f64 v[26:27], v[62:63], s[16:17]
	v_add_f64 v[98:99], v[58:59], v[24:25]
	v_fma_f64 v[24:25], v[46:47], s[28:29], v[26:27]
	v_fma_f64 v[80:81], v[46:47], s[18:19], v[26:27]
	v_add_f64 v[100:101], v[24:25], v[138:139]
	v_mul_f64 v[24:25], v[102:103], s[30:31]
	v_add_f64 v[96:97], v[80:81], v[130:131]
	v_fma_f64 v[26:27], v[50:51], s[26:27], v[24:25]
	v_fma_f64 v[24:25], v[50:51], s[26:27], -v[24:25]
	v_add_f64 v[78:79], v[26:27], v[78:79]
	v_mul_f64 v[26:27], v[62:63], s[26:27]
	v_fma_f64 v[58:59], v[46:47], s[42:43], v[26:27]
	v_add_f64 v[80:81], v[58:59], v[72:73]
	v_add_f64 v[72:73], v[24:25], v[74:75]
	v_fma_f64 v[24:25], v[46:47], s[30:31], v[26:27]
	v_add_f64 v[74:75], v[24:25], v[76:77]
	v_mul_f64 v[24:25], v[102:103], s[56:57]
	v_fma_f64 v[26:27], v[50:51], s[22:23], v[24:25]
	v_fma_f64 v[24:25], v[50:51], s[22:23], -v[24:25]
	v_add_f64 v[58:59], v[26:27], v[60:61]
	v_mul_f64 v[26:27], v[62:63], s[22:23]
	v_add_f64 v[48:49], v[24:25], v[48:49]
	v_fma_f64 v[24:25], v[46:47], s[56:57], v[26:27]
	v_fma_f64 v[60:61], v[46:47], s[24:25], v[26:27]
	v_add_f64 v[50:51], v[24:25], v[44:45]
	s_clause 0x3
	buffer_load_dword v24, off, s[60:63], 0 offset:784
	buffer_load_dword v25, off, s[60:63], 0 offset:788
	;; [unrolled: 1-line block ×4, first 2 shown]
	v_add_f64 v[60:61], v[60:61], v[52:53]
	s_waitcnt vmcnt(0)
	ds_write_b128 v158, v[24:27]
	ds_write_b128 v158, v[32:35] offset:16
	ds_write_b128 v158, v[40:43] offset:32
	ds_write_b128 v158, v[82:85] offset:48
	ds_write_b128 v158, v[86:89] offset:64
	ds_write_b128 v158, v[68:71] offset:80
	ds_write_b128 v158, v[94:97] offset:96
	ds_write_b128 v158, v[78:81] offset:112
	ds_write_b128 v158, v[58:61] offset:128
	ds_write_b128 v158, v[48:51] offset:144
	ds_write_b128 v158, v[72:75] offset:160
	ds_write_b128 v158, v[98:101] offset:176
	ds_write_b128 v158, v[90:93] offset:192
	ds_write_b128 v158, v[64:67] offset:208
	ds_write_b128 v158, v[54:57] offset:224
	ds_write_b128 v158, v[36:39] offset:240
	ds_write_b128 v158, v[28:31] offset:256
	s_and_saveexec_b32 s33, vcc_lo
	s_cbranch_execz .LBB0_13
; %bb.12:
	buffer_store_dword v221, off, s[60:63], 0 offset:876 ; 4-byte Folded Spill
	buffer_store_dword v222, off, s[60:63], 0 offset:880 ; 4-byte Folded Spill
	;; [unrolled: 1-line block ×8, first 2 shown]
	s_clause 0x3
	buffer_load_dword v224, off, s[60:63], 0 offset:120
	buffer_load_dword v225, off, s[60:63], 0 offset:124
	buffer_load_dword v226, off, s[60:63], 0 offset:128
	buffer_load_dword v227, off, s[60:63], 0 offset:132
	buffer_store_dword v229, off, s[60:63], 0 offset:892 ; 4-byte Folded Spill
	buffer_store_dword v230, off, s[60:63], 0 offset:896 ; 4-byte Folded Spill
	buffer_store_dword v231, off, s[60:63], 0 offset:900 ; 4-byte Folded Spill
	buffer_store_dword v232, off, s[60:63], 0 offset:904 ; 4-byte Folded Spill
	s_clause 0x3
	buffer_load_dword v228, off, s[60:63], 0 offset:136
	buffer_load_dword v229, off, s[60:63], 0 offset:140
	buffer_load_dword v230, off, s[60:63], 0 offset:144
	buffer_load_dword v231, off, s[60:63], 0 offset:148
	buffer_store_dword v217, off, s[60:63], 0 offset:860 ; 4-byte Folded Spill
	buffer_store_dword v218, off, s[60:63], 0 offset:864 ; 4-byte Folded Spill
	buffer_store_dword v219, off, s[60:63], 0 offset:868 ; 4-byte Folded Spill
	buffer_store_dword v220, off, s[60:63], 0 offset:872 ; 4-byte Folded Spill
	;; [unrolled: 9-line block ×7, first 2 shown]
	s_clause 0x7
	buffer_load_dword v200, off, s[60:63], 0 offset:24
	buffer_load_dword v201, off, s[60:63], 0 offset:28
	;; [unrolled: 1-line block ×8, first 2 shown]
	v_mov_b32_e32 v232, v194
	s_waitcnt vmcnt(30)
	v_add_f64 v[68:69], v[224:225], -v[228:229]
	s_waitcnt vmcnt(28)
	v_add_f64 v[76:77], v[226:227], v[230:231]
	s_waitcnt vmcnt(26)
	v_add_f64 v[70:71], v[252:253], -v[220:221]
	s_waitcnt vmcnt(24)
	v_add_f64 v[78:79], v[254:255], v[222:223]
	;; [unrolled: 4-line block ×6, first 2 shown]
	s_waitcnt vmcnt(6)
	v_add_f64 v[96:97], v[248:249], -v[200:201]
	s_waitcnt vmcnt(2)
	v_add_f64 v[134:135], v[4:5], -v[196:197]
	s_waitcnt vmcnt(0)
	v_add_f64 v[100:101], v[6:7], v[198:199]
	v_add_f64 v[88:89], v[250:251], v[202:203]
	v_add_f64 v[150:151], v[6:7], -v[198:199]
	v_add_f64 v[148:149], v[250:251], -v[202:203]
	v_add_f64 v[132:133], v[4:5], v[196:197]
	v_add_f64 v[146:147], v[22:23], -v[206:207]
	v_add_f64 v[130:131], v[248:249], v[200:201]
	;; [unrolled: 2-line block ×4, first 2 shown]
	v_mul_f64 v[28:29], v[70:71], s[30:31]
	v_mul_f64 v[32:33], v[90:91], s[28:29]
	v_add_f64 v[140:141], v[10:11], -v[218:219]
	v_mul_f64 v[36:37], v[92:93], s[36:37]
	v_add_f64 v[124:125], v[12:13], v[212:213]
	v_mul_f64 v[40:41], v[94:95], s[40:41]
	v_mul_f64 v[24:25], v[68:69], s[56:57]
	;; [unrolled: 1-line block ×3, first 2 shown]
	v_add_f64 v[138:139], v[254:255], -v[222:223]
	v_mul_f64 v[48:49], v[96:97], s[20:21]
	v_mul_f64 v[52:53], v[134:135], s[48:49]
	v_add_f64 v[122:123], v[8:9], v[216:217]
	v_add_f64 v[136:137], v[226:227], -v[230:231]
	v_mul_f64 v[72:73], v[150:151], s[48:49]
	v_mul_f64 v[64:65], v[148:149], s[20:21]
	v_add_f64 v[120:121], v[252:253], v[220:221]
	v_mul_f64 v[60:61], v[146:147], s[44:45]
	v_add_f64 v[102:103], v[224:225], v[228:229]
	v_mul_f64 v[56:57], v[144:145], s[40:41]
	v_mul_f64 v[162:163], v[150:151], s[36:37]
	;; [unrolled: 1-line block ×4, first 2 shown]
	v_fma_f64 v[30:31], v[78:79], s[26:27], v[28:29]
	v_fma_f64 v[34:35], v[80:81], s[16:17], v[32:33]
	v_fma_f64 v[28:29], v[78:79], s[26:27], -v[28:29]
	v_fma_f64 v[38:39], v[82:83], s[34:35], v[36:37]
	v_mul_f64 v[174:175], v[148:149], s[48:49]
	v_fma_f64 v[42:43], v[84:85], s[4:5], v[40:41]
	v_fma_f64 v[26:27], v[76:77], s[22:23], v[24:25]
	;; [unrolled: 1-line block ×3, first 2 shown]
	v_fma_f64 v[24:25], v[76:77], s[22:23], -v[24:25]
	v_fma_f64 v[50:51], v[88:89], s[0:1], v[48:49]
	v_fma_f64 v[54:55], v[100:101], s[46:47], v[52:53]
	v_mul_f64 v[186:187], v[150:151], s[18:19]
	v_mul_f64 v[182:183], v[148:149], s[36:37]
	v_fma_f64 v[74:75], v[132:133], s[46:47], -v[72:73]
	v_fma_f64 v[66:67], v[130:131], s[0:1], -v[64:65]
	v_mul_f64 v[190:191], v[148:149], s[24:25]
	v_fma_f64 v[62:63], v[128:129], s[38:39], -v[60:61]
	v_fma_f64 v[58:59], v[126:127], s[4:5], -v[56:57]
	;; [unrolled: 1-line block ×6, first 2 shown]
	v_add_f64 v[54:55], v[2:3], v[54:55]
	v_fma_f64 v[188:189], v[132:133], s[16:17], -v[186:187]
	v_fma_f64 v[184:185], v[130:131], s[34:35], -v[182:183]
	v_add_f64 v[74:75], v[0:1], v[74:75]
	v_fma_f64 v[192:193], v[130:131], s[22:23], -v[190:191]
	v_add_f64 v[164:165], v[0:1], v[164:165]
	v_add_f64 v[180:181], v[0:1], v[180:181]
	;; [unrolled: 1-line block ×5, first 2 shown]
	v_mul_f64 v[74:75], v[150:151], s[44:45]
	v_add_f64 v[176:177], v[176:177], v[180:181]
	v_add_f64 v[46:47], v[46:47], v[50:51]
	v_mul_f64 v[50:51], v[142:143], s[36:37]
	v_add_f64 v[184:185], v[184:185], v[188:189]
	v_add_f64 v[62:63], v[62:63], v[66:67]
	v_mul_f64 v[66:67], v[148:149], s[28:29]
	v_add_f64 v[42:43], v[42:43], v[46:47]
	v_fma_f64 v[54:55], v[124:125], s[34:35], -v[50:51]
	v_add_f64 v[58:59], v[58:59], v[62:63]
	v_mul_f64 v[62:63], v[146:147], s[24:25]
	v_add_f64 v[38:39], v[38:39], v[42:43]
	v_mul_f64 v[42:43], v[140:141], s[28:29]
	;; [unrolled: 2-line block ×3, first 2 shown]
	v_add_f64 v[34:35], v[34:35], v[38:39]
	v_fma_f64 v[46:47], v[122:123], s[16:17], -v[42:43]
	v_add_f64 v[30:31], v[30:31], v[34:35]
	v_mul_f64 v[34:35], v[138:139], s[30:31]
	v_add_f64 v[46:47], v[46:47], v[54:55]
	v_add_f64 v[154:155], v[26:27], v[30:31]
	v_mul_f64 v[26:27], v[136:137], s[56:57]
	v_fma_f64 v[38:39], v[120:121], s[26:27], -v[34:35]
	v_fma_f64 v[30:31], v[102:103], s[22:23], -v[26:27]
	v_add_f64 v[38:39], v[38:39], v[46:47]
	v_add_f64 v[152:153], v[30:31], v[38:39]
	v_fma_f64 v[38:39], v[86:87], s[38:39], -v[44:45]
	v_fma_f64 v[44:45], v[100:101], s[46:47], -v[52:53]
	;; [unrolled: 1-line block ×6, first 2 shown]
	v_mul_f64 v[52:53], v[134:135], s[44:45]
	v_mul_f64 v[48:49], v[96:97], s[28:29]
	buffer_store_dword v152, off, s[60:63], 0 offset:940 ; 4-byte Folded Spill
	buffer_store_dword v153, off, s[60:63], 0 offset:944 ; 4-byte Folded Spill
	;; [unrolled: 1-line block ×4, first 2 shown]
	v_fma_f64 v[152:153], v[132:133], s[38:39], -v[74:75]
	v_add_f64 v[44:45], v[2:3], v[44:45]
	v_mul_f64 v[154:155], v[148:149], s[42:43]
	v_mul_f64 v[148:149], v[148:149], s[12:13]
	v_fma_f64 v[54:55], v[100:101], s[38:39], v[52:53]
	v_add_f64 v[152:153], v[0:1], v[152:153]
	v_add_f64 v[40:41], v[40:41], v[44:45]
	v_mul_f64 v[44:45], v[98:99], s[24:25]
	v_fma_f64 v[160:161], v[130:131], s[26:27], -v[154:155]
	v_add_f64 v[54:55], v[2:3], v[54:55]
	v_add_f64 v[38:39], v[38:39], v[40:41]
	v_fma_f64 v[46:47], v[86:87], s[22:23], v[44:45]
	v_add_f64 v[160:161], v[160:161], v[164:165]
	v_add_f64 v[36:37], v[36:37], v[38:39]
	v_fma_f64 v[38:39], v[132:133], s[46:47], v[72:73]
	v_fma_f64 v[72:73], v[130:131], s[16:17], -v[66:67]
	v_add_f64 v[32:33], v[32:33], v[36:37]
	v_fma_f64 v[36:37], v[130:131], s[0:1], v[64:65]
	v_add_f64 v[38:39], v[0:1], v[38:39]
	v_fma_f64 v[64:65], v[128:129], s[22:23], -v[62:63]
	v_add_f64 v[72:73], v[72:73], v[152:153]
	v_add_f64 v[30:31], v[30:31], v[32:33]
	v_fma_f64 v[32:33], v[126:127], s[4:5], v[56:57]
	v_add_f64 v[36:37], v[36:37], v[38:39]
	v_add_f64 v[64:65], v[64:65], v[72:73]
	v_add_f64 v[28:29], v[28:29], v[30:31]
	v_fma_f64 v[30:31], v[124:125], s[34:35], v[50:51]
	v_fma_f64 v[50:51], v[88:89], s[16:17], v[48:49]
	v_add_f64 v[40:41], v[24:25], v[28:29]
	v_fma_f64 v[24:25], v[102:103], s[22:23], v[26:27]
	v_fma_f64 v[26:27], v[120:121], s[26:27], v[34:35]
	;; [unrolled: 1-line block ×4, first 2 shown]
	v_add_f64 v[50:51], v[50:51], v[54:55]
	v_mul_f64 v[54:55], v[142:143], s[2:3]
	v_fma_f64 v[60:61], v[126:127], s[34:35], -v[58:59]
	v_add_f64 v[34:35], v[34:35], v[36:37]
	v_mul_f64 v[36:37], v[92:93], s[2:3]
	v_add_f64 v[46:47], v[46:47], v[50:51]
	v_fma_f64 v[56:57], v[124:125], s[0:1], -v[54:55]
	v_add_f64 v[60:61], v[60:61], v[64:65]
	v_add_f64 v[32:33], v[32:33], v[34:35]
	v_mul_f64 v[34:35], v[90:91], s[48:49]
	v_add_f64 v[56:57], v[56:57], v[60:61]
	v_mul_f64 v[60:61], v[134:135], s[36:37]
	v_add_f64 v[30:31], v[30:31], v[32:33]
	v_mul_f64 v[32:33], v[70:71], s[40:41]
	v_add_f64 v[28:29], v[28:29], v[30:31]
	v_fma_f64 v[30:31], v[80:81], s[46:47], v[34:35]
	v_fma_f64 v[34:35], v[80:81], s[46:47], -v[34:35]
	v_add_f64 v[26:27], v[26:27], v[28:29]
	v_fma_f64 v[28:29], v[78:79], s[4:5], v[32:33]
	v_fma_f64 v[32:33], v[78:79], s[4:5], -v[32:33]
	v_add_f64 v[38:39], v[24:25], v[26:27]
	v_mul_f64 v[24:25], v[68:69], s[30:31]
	buffer_store_dword v38, off, s[60:63], 0 offset:956 ; 4-byte Folded Spill
	buffer_store_dword v39, off, s[60:63], 0 offset:960 ; 4-byte Folded Spill
	;; [unrolled: 1-line block ×4, first 2 shown]
	v_mul_f64 v[40:41], v[94:95], s[54:55]
	v_fma_f64 v[38:39], v[82:83], s[0:1], v[36:37]
	v_fma_f64 v[26:27], v[76:77], s[26:27], v[24:25]
	v_fma_f64 v[36:37], v[82:83], s[0:1], -v[36:37]
	v_fma_f64 v[24:25], v[76:77], s[26:27], -v[24:25]
	v_fma_f64 v[42:43], v[84:85], s[34:35], v[40:41]
	v_fma_f64 v[40:41], v[84:85], s[34:35], -v[40:41]
	v_add_f64 v[42:43], v[42:43], v[46:47]
	v_mul_f64 v[46:47], v[140:141], s[48:49]
	v_add_f64 v[38:39], v[38:39], v[42:43]
	v_fma_f64 v[50:51], v[122:123], s[46:47], -v[46:47]
	v_add_f64 v[30:31], v[30:31], v[38:39]
	v_mul_f64 v[38:39], v[138:139], s[40:41]
	v_add_f64 v[50:51], v[50:51], v[56:57]
	v_mul_f64 v[56:57], v[96:97], s[42:43]
	v_add_f64 v[28:29], v[28:29], v[30:31]
	v_fma_f64 v[42:43], v[120:121], s[4:5], -v[38:39]
	v_add_f64 v[30:31], v[26:27], v[28:29]
	v_mul_f64 v[26:27], v[136:137], s[30:31]
	v_add_f64 v[42:43], v[42:43], v[50:51]
	v_fma_f64 v[28:29], v[102:103], s[26:27], -v[26:27]
	v_add_f64 v[28:29], v[28:29], v[42:43]
	v_fma_f64 v[42:43], v[86:87], s[22:23], -v[44:45]
	v_fma_f64 v[44:45], v[88:89], s[16:17], -v[48:49]
	;; [unrolled: 1-line block ×3, first 2 shown]
	v_mul_f64 v[52:53], v[98:99], s[2:3]
	buffer_store_dword v28, off, s[60:63], 0 offset:972 ; 4-byte Folded Spill
	buffer_store_dword v29, off, s[60:63], 0 offset:976 ; 4-byte Folded Spill
	;; [unrolled: 1-line block ×4, first 2 shown]
	v_add_f64 v[48:49], v[2:3], v[48:49]
	v_add_f64 v[44:45], v[44:45], v[48:49]
	v_mul_f64 v[48:49], v[94:95], s[44:45]
	v_add_f64 v[42:43], v[42:43], v[44:45]
	v_fma_f64 v[44:45], v[132:133], s[38:39], v[74:75]
	v_fma_f64 v[50:51], v[84:85], s[38:39], v[48:49]
	v_mul_f64 v[74:75], v[146:147], s[2:3]
	v_fma_f64 v[48:49], v[84:85], s[38:39], -v[48:49]
	v_add_f64 v[40:41], v[40:41], v[42:43]
	v_fma_f64 v[42:43], v[130:131], s[16:17], v[66:67]
	v_add_f64 v[44:45], v[0:1], v[44:45]
	v_mul_f64 v[66:67], v[144:145], s[44:45]
	v_fma_f64 v[152:153], v[128:129], s[0:1], -v[74:75]
	v_add_f64 v[36:37], v[36:37], v[40:41]
	v_fma_f64 v[40:41], v[128:129], s[22:23], v[62:63]
	v_add_f64 v[42:43], v[42:43], v[44:45]
	v_fma_f64 v[62:63], v[100:101], s[34:35], v[60:61]
	v_mul_f64 v[44:45], v[92:93], s[56:57]
	v_fma_f64 v[72:73], v[126:127], s[38:39], -v[66:67]
	v_add_f64 v[152:153], v[152:153], v[160:161]
	v_add_f64 v[34:35], v[34:35], v[36:37]
	v_fma_f64 v[36:37], v[124:125], s[0:1], v[54:55]
	v_add_f64 v[40:41], v[40:41], v[42:43]
	v_add_f64 v[62:63], v[2:3], v[62:63]
	v_fma_f64 v[54:55], v[86:87], s[0:1], v[52:53]
	v_mul_f64 v[42:43], v[90:91], s[12:13]
	v_add_f64 v[72:73], v[72:73], v[152:153]
	v_mul_f64 v[152:153], v[134:135], s[30:31]
	v_add_f64 v[32:33], v[32:33], v[34:35]
	v_add_f64 v[34:35], v[24:25], v[32:33]
	v_fma_f64 v[24:25], v[102:103], s[26:27], v[26:27]
	v_fma_f64 v[26:27], v[120:121], s[4:5], v[38:39]
	;; [unrolled: 1-line block ×6, first 2 shown]
	v_fma_f64 v[44:45], v[82:83], s[22:23], -v[44:45]
	v_add_f64 v[38:39], v[38:39], v[40:41]
	v_add_f64 v[58:59], v[58:59], v[62:63]
	v_mul_f64 v[40:41], v[70:71], s[48:49]
	v_mul_f64 v[62:63], v[142:143], s[56:57]
	v_add_f64 v[36:37], v[36:37], v[38:39]
	v_add_f64 v[54:55], v[54:55], v[58:59]
	v_fma_f64 v[38:39], v[80:81], s[4:5], v[42:43]
	v_fma_f64 v[64:65], v[124:125], s[22:23], -v[62:63]
	v_fma_f64 v[42:43], v[80:81], s[4:5], -v[42:43]
	v_add_f64 v[32:33], v[32:33], v[36:37]
	v_add_f64 v[50:51], v[50:51], v[54:55]
	v_fma_f64 v[36:37], v[78:79], s[46:47], v[40:41]
	v_mul_f64 v[54:55], v[140:141], s[12:13]
	v_add_f64 v[64:65], v[64:65], v[72:73]
	v_fma_f64 v[40:41], v[78:79], s[46:47], -v[40:41]
	v_mul_f64 v[72:73], v[98:99], s[40:41]
	v_add_f64 v[26:27], v[26:27], v[32:33]
	v_add_f64 v[46:47], v[46:47], v[50:51]
	v_fma_f64 v[58:59], v[122:123], s[4:5], -v[54:55]
	v_add_f64 v[32:33], v[24:25], v[26:27]
	v_mul_f64 v[24:25], v[68:69], s[28:29]
	v_add_f64 v[38:39], v[38:39], v[46:47]
	v_mul_f64 v[46:47], v[138:139], s[48:49]
	v_add_f64 v[58:59], v[58:59], v[64:65]
	v_mul_f64 v[64:65], v[92:93], s[48:49]
	v_fma_f64 v[26:27], v[76:77], s[16:17], v[24:25]
	v_add_f64 v[36:37], v[36:37], v[38:39]
	v_fma_f64 v[50:51], v[120:121], s[46:47], -v[46:47]
	v_fma_f64 v[24:25], v[76:77], s[16:17], -v[24:25]
	v_add_f64 v[38:39], v[26:27], v[36:37]
	v_mul_f64 v[26:27], v[136:137], s[28:29]
	v_add_f64 v[50:51], v[50:51], v[58:59]
	v_mul_f64 v[58:59], v[150:151], s[30:31]
	v_fma_f64 v[36:37], v[102:103], s[16:17], -v[26:27]
	v_fma_f64 v[172:173], v[132:133], s[26:27], -v[58:59]
	v_fma_f64 v[58:59], v[132:133], s[26:27], v[58:59]
	v_add_f64 v[36:37], v[36:37], v[50:51]
	v_fma_f64 v[50:51], v[86:87], s[0:1], -v[52:53]
	v_fma_f64 v[52:53], v[88:89], s[26:27], -v[56:57]
	;; [unrolled: 1-line block ×3, first 2 shown]
	v_add_f64 v[172:173], v[0:1], v[172:173]
	v_mul_f64 v[60:61], v[70:71], s[2:3]
	v_add_f64 v[58:59], v[0:1], v[58:59]
	v_add_f64 v[56:57], v[2:3], v[56:57]
	;; [unrolled: 1-line block ×4, first 2 shown]
	v_fma_f64 v[56:57], v[100:101], s[26:27], v[152:153]
	v_fma_f64 v[152:153], v[100:101], s[26:27], -v[152:153]
	v_add_f64 v[50:51], v[50:51], v[52:53]
	v_fma_f64 v[52:53], v[132:133], s[34:35], v[162:163]
	v_add_f64 v[56:57], v[2:3], v[56:57]
	v_add_f64 v[152:153], v[2:3], v[152:153]
	;; [unrolled: 1-line block ×3, first 2 shown]
	v_fma_f64 v[50:51], v[130:131], s[26:27], v[154:155]
	v_add_f64 v[52:53], v[0:1], v[52:53]
	v_add_f64 v[44:45], v[44:45], v[48:49]
	v_fma_f64 v[48:49], v[128:129], s[0:1], v[74:75]
	v_add_f64 v[50:51], v[50:51], v[52:53]
	v_mul_f64 v[74:75], v[96:97], s[50:51]
	v_fma_f64 v[52:53], v[86:87], s[4:5], v[72:73]
	v_fma_f64 v[72:73], v[86:87], s[4:5], -v[72:73]
	v_add_f64 v[42:43], v[42:43], v[44:45]
	v_fma_f64 v[44:45], v[124:125], s[22:23], v[62:63]
	v_add_f64 v[48:49], v[48:49], v[50:51]
	v_mul_f64 v[62:63], v[90:91], s[56:57]
	v_mul_f64 v[50:51], v[68:69], s[36:37]
	v_add_f64 v[40:41], v[40:41], v[42:43]
	v_add_f64 v[42:43], v[24:25], v[40:41]
	v_fma_f64 v[24:25], v[102:103], s[16:17], v[26:27]
	v_fma_f64 v[26:27], v[120:121], s[46:47], v[46:47]
	;; [unrolled: 1-line block ×5, first 2 shown]
	v_mul_f64 v[66:67], v[94:95], s[18:19]
	v_fma_f64 v[74:75], v[88:89], s[38:39], -v[74:75]
	v_add_f64 v[46:47], v[46:47], v[48:49]
	v_add_f64 v[54:55], v[54:55], v[56:57]
	v_fma_f64 v[48:49], v[84:85], s[16:17], v[66:67]
	v_mul_f64 v[56:57], v[146:147], s[40:41]
	v_add_f64 v[74:75], v[74:75], v[152:153]
	v_fma_f64 v[66:67], v[84:85], s[16:17], -v[66:67]
	v_mul_f64 v[152:153], v[96:97], s[48:49]
	v_add_f64 v[44:45], v[44:45], v[46:47]
	v_add_f64 v[52:53], v[52:53], v[54:55]
	v_fma_f64 v[46:47], v[82:83], s[46:47], v[64:65]
	v_mul_f64 v[54:55], v[144:145], s[18:19]
	v_fma_f64 v[166:167], v[128:129], s[4:5], -v[56:57]
	v_add_f64 v[72:73], v[72:73], v[74:75]
	v_fma_f64 v[64:65], v[82:83], s[46:47], -v[64:65]
	v_fma_f64 v[56:57], v[128:129], s[4:5], v[56:57]
	v_add_f64 v[40:41], v[40:41], v[44:45]
	v_add_f64 v[48:49], v[48:49], v[52:53]
	v_fma_f64 v[44:45], v[80:81], s[22:23], v[62:63]
	v_mul_f64 v[52:53], v[142:143], s[48:49]
	v_fma_f64 v[164:165], v[126:127], s[16:17], -v[54:55]
	v_add_f64 v[166:167], v[166:167], v[170:171]
	v_add_f64 v[66:67], v[66:67], v[72:73]
	v_fma_f64 v[62:63], v[80:81], s[22:23], -v[62:63]
	v_fma_f64 v[54:55], v[126:127], s[16:17], v[54:55]
	v_mul_f64 v[72:73], v[98:99], s[42:43]
	v_mul_f64 v[170:171], v[146:147], s[42:43]
	v_add_f64 v[26:27], v[26:27], v[40:41]
	v_add_f64 v[46:47], v[46:47], v[48:49]
	v_mul_f64 v[48:49], v[140:141], s[56:57]
	v_fma_f64 v[162:163], v[124:125], s[46:47], -v[52:53]
	v_fma_f64 v[52:53], v[124:125], s[46:47], v[52:53]
	v_add_f64 v[164:165], v[164:165], v[166:167]
	v_add_f64 v[64:65], v[64:65], v[66:67]
	v_mul_f64 v[166:167], v[144:145], s[20:21]
	v_fma_f64 v[74:75], v[86:87], s[26:27], v[72:73]
	v_fma_f64 v[172:173], v[128:129], s[26:27], -v[170:171]
	v_add_f64 v[40:41], v[24:25], v[26:27]
	v_fma_f64 v[26:27], v[78:79], s[0:1], v[60:61]
	v_add_f64 v[44:45], v[44:45], v[46:47]
	v_fma_f64 v[24:25], v[76:77], s[34:35], v[50:51]
	v_fma_f64 v[160:161], v[122:123], s[22:23], -v[48:49]
	v_add_f64 v[162:163], v[162:163], v[164:165]
	v_fma_f64 v[60:61], v[78:79], s[0:1], -v[60:61]
	v_add_f64 v[62:63], v[62:63], v[64:65]
	v_fma_f64 v[50:51], v[76:77], s[34:35], -v[50:51]
	v_mul_f64 v[64:65], v[94:95], s[20:21]
	v_fma_f64 v[48:49], v[122:123], s[22:23], v[48:49]
	v_add_f64 v[172:173], v[172:173], v[176:177]
	v_add_f64 v[26:27], v[26:27], v[44:45]
	v_add_f64 v[160:161], v[160:161], v[162:163]
	v_add_f64 v[60:61], v[60:61], v[62:63]
	v_fma_f64 v[66:67], v[84:85], s[0:1], v[64:65]
	v_fma_f64 v[64:65], v[84:85], s[0:1], -v[64:65]
	v_add_f64 v[46:47], v[24:25], v[26:27]
	v_mul_f64 v[26:27], v[138:139], s[2:3]
	v_mul_f64 v[24:25], v[136:137], s[36:37]
	v_add_f64 v[50:51], v[50:51], v[60:61]
	v_fma_f64 v[60:61], v[130:131], s[38:39], v[168:169]
	v_fma_f64 v[168:169], v[126:127], s[0:1], -v[166:167]
	v_fma_f64 v[154:155], v[120:121], s[0:1], -v[26:27]
	;; [unrolled: 1-line block ×3, first 2 shown]
	v_fma_f64 v[26:27], v[120:121], s[0:1], v[26:27]
	v_fma_f64 v[24:25], v[102:103], s[34:35], v[24:25]
	v_add_f64 v[58:59], v[60:61], v[58:59]
	v_mul_f64 v[60:61], v[92:93], s[18:19]
	v_add_f64 v[168:169], v[168:169], v[172:173]
	v_add_f64 v[154:155], v[154:155], v[160:161]
	v_mul_f64 v[160:161], v[134:135], s[24:25]
	v_add_f64 v[56:57], v[56:57], v[58:59]
	v_mul_f64 v[58:59], v[90:91], s[44:45]
	v_fma_f64 v[62:63], v[82:83], s[16:17], v[60:61]
	v_fma_f64 v[60:61], v[82:83], s[16:17], -v[60:61]
	v_add_f64 v[44:45], v[44:45], v[154:155]
	v_fma_f64 v[162:163], v[100:101], s[22:23], v[160:161]
	v_fma_f64 v[154:155], v[88:89], s[46:47], v[152:153]
	v_add_f64 v[54:55], v[54:55], v[56:57]
	v_mul_f64 v[56:57], v[70:71], s[54:55]
	v_add_f64 v[162:163], v[2:3], v[162:163]
	v_add_f64 v[52:53], v[52:53], v[54:55]
	v_fma_f64 v[54:55], v[80:81], s[38:39], v[58:59]
	v_fma_f64 v[58:59], v[80:81], s[38:39], -v[58:59]
	v_add_f64 v[154:155], v[154:155], v[162:163]
	v_mul_f64 v[162:163], v[142:143], s[18:19]
	v_add_f64 v[48:49], v[48:49], v[52:53]
	v_fma_f64 v[52:53], v[78:79], s[34:35], v[56:57]
	v_fma_f64 v[56:57], v[78:79], s[34:35], -v[56:57]
	v_add_f64 v[74:75], v[74:75], v[154:155]
	v_fma_f64 v[164:165], v[124:125], s[16:17], -v[162:163]
	v_add_f64 v[26:27], v[26:27], v[48:49]
	v_add_f64 v[66:67], v[66:67], v[74:75]
	v_mul_f64 v[74:75], v[140:141], s[44:45]
	v_add_f64 v[164:165], v[164:165], v[168:169]
	v_mul_f64 v[168:169], v[134:135], s[18:19]
	;; [unrolled: 2-line block ×3, first 2 shown]
	v_add_f64 v[62:63], v[62:63], v[66:67]
	v_fma_f64 v[154:155], v[122:123], s[38:39], -v[74:75]
	v_fma_f64 v[26:27], v[76:77], s[4:5], v[24:25]
	v_fma_f64 v[24:25], v[76:77], s[4:5], -v[24:25]
	v_add_f64 v[54:55], v[54:55], v[62:63]
	v_mul_f64 v[62:63], v[138:139], s[54:55]
	v_add_f64 v[154:155], v[154:155], v[164:165]
	v_mul_f64 v[164:165], v[96:97], s[36:37]
	v_add_f64 v[52:53], v[52:53], v[54:55]
	v_fma_f64 v[66:67], v[120:121], s[34:35], -v[62:63]
	v_add_f64 v[54:55], v[26:27], v[52:53]
	v_mul_f64 v[26:27], v[136:137], s[40:41]
	v_add_f64 v[66:67], v[66:67], v[154:155]
	v_fma_f64 v[52:53], v[102:103], s[4:5], -v[26:27]
	v_add_f64 v[52:53], v[52:53], v[66:67]
	v_fma_f64 v[66:67], v[86:87], s[26:27], -v[72:73]
	v_fma_f64 v[72:73], v[88:89], s[46:47], -v[152:153]
	;; [unrolled: 1-line block ×3, first 2 shown]
	v_mul_f64 v[160:161], v[98:99], s[52:53]
	v_add_f64 v[152:153], v[2:3], v[152:153]
	v_add_f64 v[72:73], v[72:73], v[152:153]
	v_mul_f64 v[152:153], v[94:95], s[42:43]
	v_add_f64 v[66:67], v[66:67], v[72:73]
	v_fma_f64 v[72:73], v[132:133], s[22:23], v[178:179]
	v_mul_f64 v[178:179], v[146:147], s[52:53]
	v_fma_f64 v[154:155], v[84:85], s[26:27], v[152:153]
	v_add_f64 v[64:65], v[64:65], v[66:67]
	v_fma_f64 v[66:67], v[130:131], s[46:47], v[174:175]
	v_add_f64 v[72:73], v[0:1], v[72:73]
	v_mul_f64 v[174:175], v[144:145], s[42:43]
	v_fma_f64 v[180:181], v[128:129], s[46:47], -v[178:179]
	v_add_f64 v[60:61], v[60:61], v[64:65]
	v_fma_f64 v[64:65], v[128:129], s[26:27], v[170:171]
	v_add_f64 v[66:67], v[66:67], v[72:73]
	v_fma_f64 v[170:171], v[100:101], s[16:17], v[168:169]
	v_mul_f64 v[72:73], v[92:93], s[40:41]
	v_fma_f64 v[176:177], v[126:127], s[26:27], -v[174:175]
	v_add_f64 v[180:181], v[180:181], v[184:185]
	v_add_f64 v[58:59], v[58:59], v[60:61]
	v_fma_f64 v[60:61], v[124:125], s[16:17], v[162:163]
	v_add_f64 v[64:65], v[64:65], v[66:67]
	v_add_f64 v[170:171], v[2:3], v[170:171]
	v_fma_f64 v[162:163], v[86:87], s[46:47], v[160:161]
	v_add_f64 v[176:177], v[176:177], v[180:181]
	v_add_f64 v[56:57], v[56:57], v[58:59]
	;; [unrolled: 1-line block ×3, first 2 shown]
	v_fma_f64 v[24:25], v[102:103], s[4:5], v[26:27]
	v_fma_f64 v[26:27], v[120:121], s[34:35], v[62:63]
	;; [unrolled: 1-line block ×6, first 2 shown]
	v_add_f64 v[62:63], v[62:63], v[64:65]
	v_add_f64 v[166:167], v[166:167], v[170:171]
	v_mul_f64 v[64:65], v[90:91], s[2:3]
	v_mul_f64 v[170:171], v[142:143], s[40:41]
	v_add_f64 v[60:61], v[60:61], v[62:63]
	v_add_f64 v[162:163], v[162:163], v[166:167]
	v_mul_f64 v[62:63], v[70:71], s[24:25]
	v_fma_f64 v[66:67], v[80:81], s[0:1], v[64:65]
	v_fma_f64 v[172:173], v[124:125], s[4:5], -v[170:171]
	v_fma_f64 v[64:65], v[80:81], s[0:1], -v[64:65]
	v_add_f64 v[56:57], v[56:57], v[60:61]
	v_add_f64 v[154:155], v[154:155], v[162:163]
	v_mul_f64 v[162:163], v[140:141], s[2:3]
	v_mul_f64 v[60:61], v[68:69], s[44:45]
	v_add_f64 v[172:173], v[172:173], v[176:177]
	v_mul_f64 v[176:177], v[134:135], s[12:13]
	v_mul_f64 v[134:135], v[134:135], s[2:3]
	v_add_f64 v[26:27], v[26:27], v[56:57]
	v_add_f64 v[74:75], v[74:75], v[154:155]
	v_mul_f64 v[154:155], v[138:139], s[24:25]
	v_fma_f64 v[166:167], v[122:123], s[0:1], -v[162:163]
	v_add_f64 v[56:57], v[24:25], v[26:27]
	v_fma_f64 v[26:27], v[78:79], s[22:23], v[62:63]
	v_add_f64 v[66:67], v[66:67], v[74:75]
	v_fma_f64 v[24:25], v[76:77], s[38:39], v[60:61]
	v_mul_f64 v[74:75], v[136:137], s[44:45]
	v_add_f64 v[166:167], v[166:167], v[172:173]
	v_fma_f64 v[62:63], v[78:79], s[22:23], -v[62:63]
	v_fma_f64 v[60:61], v[76:77], s[38:39], -v[60:61]
	v_mul_f64 v[172:173], v[96:97], s[24:25]
	v_mul_f64 v[96:97], v[96:97], s[12:13]
	v_add_f64 v[26:27], v[26:27], v[66:67]
	v_fma_f64 v[66:67], v[120:121], s[22:23], -v[154:155]
	v_add_f64 v[30:31], v[24:25], v[26:27]
	v_fma_f64 v[24:25], v[102:103], s[38:39], -v[74:75]
	v_add_f64 v[66:67], v[66:67], v[166:167]
	v_add_f64 v[28:29], v[24:25], v[66:67]
	v_fma_f64 v[66:67], v[82:83], s[4:5], -v[72:73]
	v_fma_f64 v[72:73], v[84:85], s[26:27], -v[152:153]
	;; [unrolled: 1-line block ×5, first 2 shown]
	v_mov_b32_e32 v24, v252
	v_mov_b32_e32 v25, v253
	;; [unrolled: 1-line block ×12, first 2 shown]
	v_mul_f64 v[194:195], v[150:151], s[12:13]
	v_mul_f64 v[168:169], v[98:99], s[36:37]
	;; [unrolled: 1-line block ×4, first 2 shown]
	v_add_f64 v[164:165], v[2:3], v[164:165]
	v_fma_f64 v[157:158], v[132:133], s[4:5], -v[194:195]
	v_add_f64 v[160:161], v[160:161], v[164:165]
	v_mul_f64 v[164:165], v[94:95], s[48:49]
	v_mul_f64 v[94:95], v[94:95], s[24:25]
	v_add_f64 v[157:158], v[0:1], v[157:158]
	v_add_f64 v[152:153], v[152:153], v[160:161]
	v_fma_f64 v[160:161], v[132:133], s[16:17], v[186:187]
	v_mul_f64 v[186:187], v[146:147], s[36:37]
	v_fma_f64 v[166:167], v[84:85], s[46:47], v[164:165]
	v_mul_f64 v[146:147], v[146:147], s[18:19]
	v_add_f64 v[157:158], v[192:193], v[157:158]
	v_add_f64 v[72:73], v[72:73], v[152:153]
	;; [unrolled: 1-line block ×3, first 2 shown]
	v_fma_f64 v[152:153], v[128:129], s[46:47], v[178:179]
	v_fma_f64 v[178:179], v[100:101], s[4:5], v[176:177]
	v_fma_f64 v[188:189], v[128:129], s[34:35], -v[186:187]
	v_add_f64 v[66:67], v[66:67], v[72:73]
	v_fma_f64 v[72:73], v[124:125], s[4:5], v[170:171]
	v_fma_f64 v[170:171], v[86:87], s[34:35], v[168:169]
	v_add_f64 v[178:179], v[2:3], v[178:179]
	v_add_f64 v[157:158], v[188:189], v[157:158]
	;; [unrolled: 1-line block ×4, first 2 shown]
	v_fma_f64 v[64:65], v[122:123], s[0:1], v[162:163]
	v_add_f64 v[66:67], v[60:61], v[62:63]
	v_fma_f64 v[62:63], v[120:121], s[22:23], v[154:155]
	v_fma_f64 v[154:155], v[130:131], s[34:35], v[182:183]
	;; [unrolled: 1-line block ×5, first 2 shown]
	v_mul_f64 v[182:183], v[144:145], s[48:49]
	v_mul_f64 v[144:145], v[144:145], s[24:25]
	v_add_f64 v[154:155], v[154:155], v[160:161]
	v_mul_f64 v[160:161], v[92:93], s[50:51]
	v_mul_f64 v[92:93], v[92:93], s[30:31]
	v_add_f64 v[174:175], v[174:175], v[178:179]
	v_mul_f64 v[178:179], v[142:143], s[50:51]
	v_fma_f64 v[184:185], v[126:127], s[46:47], -v[182:183]
	v_mul_f64 v[142:143], v[142:143], s[30:31]
	v_add_f64 v[152:153], v[152:153], v[154:155]
	v_fma_f64 v[162:163], v[82:83], s[38:39], v[160:161]
	v_add_f64 v[170:171], v[170:171], v[174:175]
	v_fma_f64 v[180:181], v[124:125], s[38:39], -v[178:179]
	v_add_f64 v[157:158], v[184:185], v[157:158]
	v_add_f64 v[74:75], v[74:75], v[152:153]
	v_mul_f64 v[152:153], v[90:91], s[42:43]
	v_mul_f64 v[90:91], v[90:91], s[36:37]
	v_add_f64 v[166:167], v[166:167], v[170:171]
	v_mul_f64 v[170:171], v[140:141], s[42:43]
	v_add_f64 v[157:158], v[180:181], v[157:158]
	;; [unrolled: 2-line block ×3, first 2 shown]
	v_mul_f64 v[74:75], v[70:71], s[28:29]
	v_fma_f64 v[154:155], v[80:81], s[26:27], v[152:153]
	v_add_f64 v[162:163], v[162:163], v[166:167]
	v_fma_f64 v[174:175], v[122:123], s[26:27], -v[170:171]
	v_fma_f64 v[152:153], v[80:81], s[26:27], -v[152:153]
	v_add_f64 v[64:65], v[64:65], v[72:73]
	v_mul_f64 v[72:73], v[68:69], s[20:21]
	v_add_f64 v[154:155], v[154:155], v[162:163]
	v_mul_f64 v[162:163], v[138:139], s[28:29]
	;; [unrolled: 2-line block ×3, first 2 shown]
	v_add_f64 v[62:63], v[62:63], v[64:65]
	v_fma_f64 v[166:167], v[120:121], s[16:17], -v[162:163]
	v_add_f64 v[64:65], v[60:61], v[62:63]
	v_fma_f64 v[62:63], v[78:79], s[16:17], v[74:75]
	v_fma_f64 v[60:61], v[76:77], s[0:1], v[72:73]
	v_fma_f64 v[74:75], v[78:79], s[16:17], -v[74:75]
	v_add_f64 v[157:158], v[166:167], v[157:158]
	v_fma_f64 v[166:167], v[88:89], s[22:23], -v[172:173]
	v_fma_f64 v[72:73], v[76:77], s[0:1], -v[72:73]
	v_add_f64 v[62:63], v[62:63], v[154:155]
	v_mul_f64 v[154:155], v[136:137], s[20:21]
	v_mul_f64 v[136:137], v[136:137], s[48:49]
	v_add_f64 v[62:63], v[60:61], v[62:63]
	v_fma_f64 v[60:61], v[102:103], s[0:1], -v[154:155]
	v_add_f64 v[60:61], v[60:61], v[157:158]
	v_fma_f64 v[157:158], v[82:83], s[38:39], -v[160:161]
	v_fma_f64 v[160:161], v[84:85], s[46:47], -v[164:165]
	;; [unrolled: 1-line block ×4, first 2 shown]
	v_add_f64 v[168:169], v[2:3], v[168:169]
	v_add_f64 v[166:167], v[166:167], v[168:169]
	v_fma_f64 v[168:169], v[100:101], s[0:1], v[134:135]
	v_add_f64 v[164:165], v[164:165], v[166:167]
	v_fma_f64 v[166:167], v[132:133], s[4:5], v[194:195]
	v_add_f64 v[168:169], v[2:3], v[168:169]
	v_mov_b32_e32 v194, v232
	v_mov_b32_e32 v195, v235
	v_mov_b32_e32 v235, v233
	v_mov_b32_e32 v233, v234
	v_mov_b32_e32 v234, v248
	v_add_f64 v[160:161], v[160:161], v[164:165]
	v_fma_f64 v[164:165], v[130:131], s[22:23], v[190:191]
	v_add_f64 v[166:167], v[0:1], v[166:167]
	v_add_f64 v[157:158], v[157:158], v[160:161]
	v_fma_f64 v[160:161], v[126:127], s[46:47], v[182:183]
	v_add_f64 v[164:165], v[164:165], v[166:167]
	v_fma_f64 v[166:167], v[88:89], s[4:5], v[96:97]
	v_fma_f64 v[88:89], v[88:89], s[4:5], -v[96:97]
	v_add_f64 v[152:153], v[152:153], v[157:158]
	v_fma_f64 v[157:158], v[124:125], s[38:39], v[178:179]
	v_add_f64 v[166:167], v[166:167], v[168:169]
	v_fma_f64 v[168:169], v[130:131], s[4:5], -v[148:149]
	v_add_f64 v[74:75], v[74:75], v[152:153]
	v_fma_f64 v[152:153], v[120:121], s[16:17], v[162:163]
	v_fma_f64 v[162:163], v[128:129], s[34:35], v[186:187]
	v_add_f64 v[74:75], v[72:73], v[74:75]
	v_fma_f64 v[72:73], v[102:103], s[0:1], v[154:155]
	v_add_f64 v[162:163], v[162:163], v[164:165]
	v_fma_f64 v[154:155], v[122:123], s[26:27], v[170:171]
	v_fma_f64 v[170:171], v[132:133], s[0:1], -v[150:151]
	v_fma_f64 v[164:165], v[86:87], s[16:17], v[98:99]
	v_fma_f64 v[86:87], v[86:87], s[16:17], -v[98:99]
	v_add_f64 v[160:161], v[160:161], v[162:163]
	v_fma_f64 v[162:163], v[84:85], s[22:23], v[94:95]
	v_add_f64 v[170:171], v[0:1], v[170:171]
	v_fma_f64 v[84:85], v[84:85], s[22:23], -v[94:95]
	v_add_f64 v[164:165], v[164:165], v[166:167]
	v_fma_f64 v[166:167], v[128:129], s[16:17], -v[146:147]
	v_add_f64 v[157:158], v[157:158], v[160:161]
	v_fma_f64 v[160:161], v[82:83], s[26:27], v[92:93]
	v_fma_f64 v[82:83], v[82:83], s[26:27], -v[92:93]
	v_fma_f64 v[92:93], v[132:133], s[0:1], v[150:151]
	v_add_f64 v[168:169], v[168:169], v[170:171]
	v_add_f64 v[162:163], v[162:163], v[164:165]
	v_fma_f64 v[164:165], v[126:127], s[22:23], -v[144:145]
	v_add_f64 v[154:155], v[154:155], v[157:158]
	v_fma_f64 v[157:158], v[80:81], s[34:35], v[90:91]
	v_fma_f64 v[80:81], v[80:81], s[34:35], -v[90:91]
	v_fma_f64 v[90:91], v[100:101], s[0:1], -v[134:135]
	v_add_f64 v[92:93], v[0:1], v[92:93]
	v_add_f64 v[0:1], v[0:1], v[4:5]
	;; [unrolled: 1-line block ×4, first 2 shown]
	v_fma_f64 v[162:163], v[124:125], s[26:27], -v[142:143]
	v_add_f64 v[152:153], v[152:153], v[154:155]
	v_mul_f64 v[154:155], v[70:71], s[44:45]
	v_add_f64 v[90:91], v[2:3], v[90:91]
	v_add_f64 v[2:3], v[2:3], v[6:7]
	;; [unrolled: 1-line block ×5, first 2 shown]
	v_fma_f64 v[160:161], v[122:123], s[34:35], -v[140:141]
	v_add_f64 v[72:73], v[72:73], v[152:153]
	v_mul_f64 v[152:153], v[68:69], s[48:49]
	v_fma_f64 v[70:71], v[78:79], s[38:39], v[154:155]
	v_add_f64 v[88:89], v[88:89], v[90:91]
	v_add_f64 v[2:3], v[2:3], v[251:252]
	;; [unrolled: 1-line block ×3, first 2 shown]
	v_fma_f64 v[90:91], v[130:131], s[4:5], v[148:149]
	v_fma_f64 v[78:79], v[78:79], s[38:39], -v[154:155]
	v_add_f64 v[162:163], v[162:163], v[164:165]
	v_fma_f64 v[68:69], v[76:77], s[46:47], v[152:153]
	v_fma_f64 v[76:77], v[76:77], s[46:47], -v[152:153]
	v_add_f64 v[86:87], v[86:87], v[88:89]
	v_add_f64 v[2:3], v[2:3], v[22:23]
	;; [unrolled: 1-line block ×3, first 2 shown]
	v_fma_f64 v[88:89], v[128:129], s[16:17], v[146:147]
	v_add_f64 v[90:91], v[90:91], v[92:93]
	v_add_f64 v[70:71], v[70:71], v[157:158]
	v_fma_f64 v[157:158], v[120:121], s[38:39], -v[138:139]
	v_add_f64 v[160:161], v[160:161], v[162:163]
	v_add_f64 v[84:85], v[84:85], v[86:87]
	;; [unrolled: 1-line block ×4, first 2 shown]
	v_fma_f64 v[86:87], v[126:127], s[22:23], v[144:145]
	v_add_f64 v[88:89], v[88:89], v[90:91]
	v_add_f64 v[70:71], v[68:69], v[70:71]
	v_fma_f64 v[68:69], v[102:103], s[46:47], -v[136:137]
	v_add_f64 v[157:158], v[157:158], v[160:161]
	v_add_f64 v[82:83], v[82:83], v[84:85]
	;; [unrolled: 1-line block ×4, first 2 shown]
	v_fma_f64 v[84:85], v[124:125], s[26:27], v[142:143]
	v_add_f64 v[86:87], v[86:87], v[88:89]
	v_add_f64 v[68:69], v[68:69], v[157:158]
	;; [unrolled: 1-line block ×5, first 2 shown]
	v_fma_f64 v[82:83], v[122:123], s[34:35], v[140:141]
	v_add_f64 v[84:85], v[84:85], v[86:87]
	v_add_f64 v[78:79], v[78:79], v[80:81]
	v_add_f64 v[2:3], v[2:3], v[26:27]
	v_add_f64 v[0:1], v[0:1], v[224:225]
	v_fma_f64 v[80:81], v[120:121], s[38:39], v[138:139]
	v_add_f64 v[82:83], v[82:83], v[84:85]
	v_add_f64 v[78:79], v[76:77], v[78:79]
	;; [unrolled: 1-line block ×4, first 2 shown]
	v_fma_f64 v[76:77], v[102:103], s[46:47], v[136:137]
	v_add_f64 v[80:81], v[80:81], v[82:83]
	v_add_f64 v[2:3], v[2:3], v[230:231]
	;; [unrolled: 1-line block ×3, first 2 shown]
	s_clause 0x7
	buffer_load_dword v225, off, s[60:63], 0 offset:924
	buffer_load_dword v226, off, s[60:63], 0 offset:928
	;; [unrolled: 1-line block ×8, first 2 shown]
	v_add_f64 v[76:77], v[76:77], v[80:81]
	v_add_f64 v[2:3], v[2:3], v[222:223]
	v_add_f64 v[0:1], v[0:1], v[216:217]
	s_clause 0x3
	buffer_load_dword v221, off, s[60:63], 0 offset:876
	buffer_load_dword v222, off, s[60:63], 0 offset:880
	buffer_load_dword v223, off, s[60:63], 0 offset:884
	buffer_load_dword v224, off, s[60:63], 0 offset:888
	v_add_f64 v[2:3], v[2:3], v[218:219]
	v_add_f64 v[0:1], v[0:1], v[212:213]
	s_clause 0x3
	buffer_load_dword v217, off, s[60:63], 0 offset:860
	buffer_load_dword v218, off, s[60:63], 0 offset:864
	buffer_load_dword v219, off, s[60:63], 0 offset:868
	buffer_load_dword v220, off, s[60:63], 0 offset:872
	v_add_f64 v[2:3], v[2:3], v[214:215]
	v_add_f64 v[0:1], v[0:1], v[208:209]
	;; [unrolled: 7-line block ×4, first 2 shown]
	s_clause 0x3
	buffer_load_dword v205, off, s[60:63], 0 offset:828
	buffer_load_dword v206, off, s[60:63], 0 offset:832
	;; [unrolled: 1-line block ×4, first 2 shown]
	v_add_f64 v[2:3], v[2:3], v[202:203]
	s_clause 0x3
	buffer_load_dword v201, off, s[60:63], 0 offset:812
	buffer_load_dword v202, off, s[60:63], 0 offset:816
	;; [unrolled: 1-line block ×4, first 2 shown]
	v_add_f64 v[0:1], v[0:1], v[196:197]
	v_add_nc_u32_e32 v196, 0x440, v156
	v_add_f64 v[2:3], v[2:3], v[198:199]
	s_clause 0x5
	buffer_load_dword v197, off, s[60:63], 0 offset:784
	buffer_load_dword v198, off, s[60:63], 0 offset:788
	;; [unrolled: 1-line block ×6, first 2 shown]
	s_waitcnt vmcnt(0)
	v_lshl_add_u32 v4, v5, 4, v4
	ds_write_b128 v4, v[0:3]
	ds_write_b128 v4, v[76:79] offset:16
	ds_write_b128 v4, v[72:75] offset:32
	;; [unrolled: 1-line block ×7, first 2 shown]
	s_clause 0x3
	buffer_load_dword v0, off, s[60:63], 0 offset:956
	buffer_load_dword v1, off, s[60:63], 0 offset:960
	buffer_load_dword v2, off, s[60:63], 0 offset:964
	buffer_load_dword v3, off, s[60:63], 0 offset:968
	s_waitcnt vmcnt(0)
	ds_write_b128 v4, v[0:3] offset:128
	s_clause 0x3
	buffer_load_dword v0, off, s[60:63], 0 offset:940
	buffer_load_dword v1, off, s[60:63], 0 offset:944
	buffer_load_dword v2, off, s[60:63], 0 offset:948
	buffer_load_dword v3, off, s[60:63], 0 offset:952
	s_waitcnt vmcnt(0)
	ds_write_b128 v4, v[0:3] offset:144
	;; [unrolled: 7-line block ×3, first 2 shown]
	ds_write_b128 v4, v[36:39] offset:176
	ds_write_b128 v4, v[44:47] offset:192
	;; [unrolled: 1-line block ×6, first 2 shown]
.LBB0_13:
	s_or_b32 exec_lo, exec_lo, s33
	s_waitcnt lgkmcnt(0)
	s_waitcnt_vscnt null, 0x0
	s_barrier
	buffer_gl0_inv
	ds_read_b128 v[4:7], v156 offset:1360
	ds_read_b128 v[8:11], v156 offset:1632
	;; [unrolled: 1-line block ×5, first 2 shown]
	s_mov_b32 s16, 0x134454ff
	s_mov_b32 s17, 0xbfee6f0e
	;; [unrolled: 1-line block ×10, first 2 shown]
	s_waitcnt lgkmcnt(4)
	v_mul_f64 v[20:21], v[118:119], v[6:7]
	s_waitcnt lgkmcnt(3)
	v_mul_f64 v[24:25], v[118:119], v[10:11]
	v_mul_f64 v[26:27], v[118:119], v[8:9]
	;; [unrolled: 1-line block ×3, first 2 shown]
	v_fma_f64 v[46:47], v[116:117], v[4:5], v[20:21]
	v_fma_f64 v[62:63], v[116:117], v[8:9], v[24:25]
	v_fma_f64 v[64:65], v[116:117], v[10:11], -v[26:27]
	s_waitcnt lgkmcnt(0)
	v_mul_f64 v[8:9], v[114:115], v[18:19]
	v_mul_f64 v[10:11], v[114:115], v[16:17]
	v_fma_f64 v[48:49], v[116:117], v[6:7], -v[22:23]
	ds_read_b128 v[4:7], v156 offset:2992
	v_fma_f64 v[50:51], v[112:113], v[16:17], v[8:9]
	v_fma_f64 v[52:53], v[112:113], v[18:19], -v[10:11]
	ds_read_b128 v[8:11], v156 offset:4080
	s_waitcnt lgkmcnt(1)
	v_mul_f64 v[20:21], v[114:115], v[6:7]
	v_mul_f64 v[22:23], v[114:115], v[4:5]
	s_waitcnt lgkmcnt(0)
	v_mul_f64 v[16:17], v[110:111], v[10:11]
	v_mul_f64 v[18:19], v[110:111], v[8:9]
	v_fma_f64 v[66:67], v[112:113], v[4:5], v[20:21]
	v_fma_f64 v[68:69], v[112:113], v[6:7], -v[22:23]
	ds_read_b128 v[4:7], v156 offset:3808
	v_fma_f64 v[54:55], v[108:109], v[8:9], v[16:17]
	v_fma_f64 v[56:57], v[108:109], v[10:11], -v[18:19]
	ds_read_b128 v[8:11], v156 offset:4352
	ds_read_b128 v[16:19], v156 offset:4624
	s_waitcnt lgkmcnt(1)
	v_mul_f64 v[20:21], v[110:111], v[10:11]
	v_add_f64 v[84:85], v[52:53], -v[56:57]
	v_fma_f64 v[70:71], v[108:109], v[8:9], v[20:21]
	v_mul_f64 v[8:9], v[110:111], v[8:9]
	v_add_f64 v[110:111], v[50:51], -v[54:55]
	v_fma_f64 v[72:73], v[108:109], v[10:11], -v[8:9]
	ds_read_b128 v[8:11], v156 offset:5440
	ds_read_b128 v[20:23], v156 offset:5712
	s_waitcnt lgkmcnt(1)
	v_mul_f64 v[24:25], v[106:107], v[10:11]
	v_fma_f64 v[58:59], v[104:105], v[8:9], v[24:25]
	v_mul_f64 v[8:9], v[106:107], v[8:9]
	v_add_f64 v[108:109], v[46:47], -v[58:59]
	v_fma_f64 v[60:61], v[104:105], v[10:11], -v[8:9]
	s_waitcnt lgkmcnt(0)
	v_mul_f64 v[8:9], v[106:107], v[22:23]
	v_add_f64 v[82:83], v[48:49], -v[60:61]
	v_fma_f64 v[74:75], v[104:105], v[20:21], v[8:9]
	v_mul_f64 v[8:9], v[106:107], v[20:21]
	v_fma_f64 v[76:77], v[104:105], v[22:23], -v[8:9]
	v_mul_f64 v[8:9], v[211:212], v[14:15]
	v_fma_f64 v[86:87], v[209:210], v[12:13], v[8:9]
	v_mul_f64 v[8:9], v[211:212], v[12:13]
	v_fma_f64 v[88:89], v[209:210], v[14:15], -v[8:9]
	ds_read_b128 v[8:11], v156 offset:3264
	ds_read_b128 v[12:15], v156 offset:3536
	s_waitcnt lgkmcnt(1)
	v_mul_f64 v[20:21], v[207:208], v[10:11]
	v_fma_f64 v[90:91], v[205:206], v[8:9], v[20:21]
	v_mul_f64 v[8:9], v[207:208], v[8:9]
	v_fma_f64 v[92:93], v[205:206], v[10:11], -v[8:9]
	v_mul_f64 v[8:9], v[203:204], v[18:19]
	v_fma_f64 v[94:95], v[201:202], v[16:17], v[8:9]
	v_mul_f64 v[8:9], v[203:204], v[16:17]
	v_add_f64 v[118:119], v[90:91], -v[94:95]
	v_fma_f64 v[96:97], v[201:202], v[18:19], -v[8:9]
	ds_read_b128 v[8:11], v156 offset:5984
	ds_read_b128 v[16:19], v156 offset:6256
	s_waitcnt lgkmcnt(1)
	v_mul_f64 v[20:21], v[199:200], v[10:11]
	v_add_f64 v[112:113], v[92:93], -v[96:97]
	v_fma_f64 v[98:99], v[197:198], v[8:9], v[20:21]
	v_mul_f64 v[8:9], v[199:200], v[8:9]
	v_add_f64 v[116:117], v[86:87], -v[98:99]
	v_fma_f64 v[100:101], v[197:198], v[10:11], -v[8:9]
	ds_read_b128 v[8:11], v156 offset:2176
	ds_read_b128 v[20:23], v156 offset:2448
	s_clause 0x3
	buffer_load_dword v26, off, s[60:63], 0 offset:480
	buffer_load_dword v27, off, s[60:63], 0 offset:484
	buffer_load_dword v28, off, s[60:63], 0 offset:488
	buffer_load_dword v29, off, s[60:63], 0 offset:492
	s_waitcnt vmcnt(0) lgkmcnt(1)
	v_mul_f64 v[24:25], v[28:29], v[10:11]
	v_fma_f64 v[32:33], v[26:27], v[8:9], v[24:25]
	v_mul_f64 v[8:9], v[28:29], v[8:9]
	v_fma_f64 v[28:29], v[26:27], v[10:11], -v[8:9]
	s_clause 0x3
	buffer_load_dword v24, off, s[60:63], 0 offset:464
	buffer_load_dword v25, off, s[60:63], 0 offset:468
	;; [unrolled: 1-line block ×4, first 2 shown]
	s_waitcnt vmcnt(0)
	v_mul_f64 v[8:9], v[26:27], v[14:15]
	v_fma_f64 v[36:37], v[24:25], v[12:13], v[8:9]
	v_mul_f64 v[8:9], v[26:27], v[12:13]
	v_fma_f64 v[30:31], v[24:25], v[14:15], -v[8:9]
	ds_read_b128 v[8:11], v156 offset:4896
	ds_read_b128 v[24:27], v156 offset:5168
	s_waitcnt lgkmcnt(1)
	v_mul_f64 v[12:13], v[223:224], v[10:11]
	v_fma_f64 v[102:103], v[221:222], v[8:9], v[12:13]
	v_mul_f64 v[8:9], v[223:224], v[8:9]
	v_fma_f64 v[34:35], v[221:222], v[10:11], -v[8:9]
	s_clause 0x7
	buffer_load_dword v10, off, s[60:63], 0 offset:544
	buffer_load_dword v11, off, s[60:63], 0 offset:548
	;; [unrolled: 1-line block ×8, first 2 shown]
	v_mul_f64 v[8:9], v[219:220], v[18:19]
	v_fma_f64 v[104:105], v[217:218], v[16:17], v[8:9]
	v_mul_f64 v[8:9], v[219:220], v[16:17]
	v_fma_f64 v[106:107], v[217:218], v[18:19], -v[8:9]
	s_waitcnt vmcnt(4)
	v_mul_f64 v[8:9], v[12:13], v[22:23]
	v_fma_f64 v[16:17], v[10:11], v[20:21], v[8:9]
	v_mul_f64 v[8:9], v[12:13], v[20:21]
	v_fma_f64 v[12:13], v[10:11], v[22:23], -v[8:9]
	s_waitcnt vmcnt(0)
	v_mul_f64 v[8:9], v[40:41], v[6:7]
	v_fma_f64 v[20:21], v[38:39], v[4:5], v[8:9]
	s_clause 0x3
	buffer_load_dword v8, off, s[60:63], 0 offset:512
	buffer_load_dword v9, off, s[60:63], 0 offset:516
	buffer_load_dword v10, off, s[60:63], 0 offset:520
	buffer_load_dword v11, off, s[60:63], 0 offset:524
	v_mul_f64 v[4:5], v[40:41], v[4:5]
	v_fma_f64 v[14:15], v[38:39], v[6:7], -v[4:5]
	s_waitcnt vmcnt(0) lgkmcnt(0)
	v_mul_f64 v[4:5], v[10:11], v[26:27]
	v_mul_f64 v[6:7], v[10:11], v[24:25]
	v_fma_f64 v[22:23], v[8:9], v[24:25], v[4:5]
	v_fma_f64 v[18:19], v[8:9], v[26:27], -v[6:7]
	ds_read_b128 v[4:7], v156 offset:6528
	s_clause 0x3
	buffer_load_dword v24, off, s[60:63], 0 offset:496
	buffer_load_dword v25, off, s[60:63], 0 offset:500
	;; [unrolled: 1-line block ×4, first 2 shown]
	ds_read_b128 v[38:41], v156
	ds_read_b128 v[42:45], v156 offset:272
	s_waitcnt vmcnt(0) lgkmcnt(2)
	v_mul_f64 v[8:9], v[26:27], v[6:7]
	v_mul_f64 v[10:11], v[26:27], v[4:5]
	v_fma_f64 v[26:27], v[24:25], v[4:5], v[8:9]
	v_fma_f64 v[24:25], v[24:25], v[6:7], -v[10:11]
	v_add_f64 v[4:5], v[46:47], -v[50:51]
	v_add_f64 v[6:7], v[58:59], -v[54:55]
	;; [unrolled: 1-line block ×4, first 2 shown]
	v_add_f64 v[4:5], v[4:5], v[6:7]
	v_add_f64 v[6:7], v[50:51], v[54:55]
	v_add_f64 v[78:79], v[8:9], v[10:11]
	v_add_f64 v[8:9], v[52:53], v[56:57]
	s_waitcnt lgkmcnt(1)
	v_fma_f64 v[6:7], v[6:7], -0.5, v[38:39]
	v_fma_f64 v[80:81], v[8:9], -0.5, v[40:41]
	v_fma_f64 v[8:9], v[82:83], s[16:17], v[6:7]
	v_fma_f64 v[6:7], v[82:83], s[12:13], v[6:7]
	;; [unrolled: 1-line block ×12, first 2 shown]
	v_add_f64 v[78:79], v[46:47], v[58:59]
	v_add_f64 v[80:81], v[48:49], v[60:61]
	v_fma_f64 v[78:79], v[78:79], -0.5, v[38:39]
	v_add_f64 v[38:39], v[38:39], v[46:47]
	v_fma_f64 v[80:81], v[80:81], -0.5, v[40:41]
	v_add_f64 v[40:41], v[40:41], v[48:49]
	v_add_f64 v[46:47], v[50:51], -v[46:47]
	v_add_f64 v[48:49], v[52:53], -v[48:49]
	v_add_f64 v[38:39], v[38:39], v[50:51]
	v_fma_f64 v[50:51], v[84:85], s[12:13], v[78:79]
	v_add_f64 v[40:41], v[40:41], v[52:53]
	v_fma_f64 v[78:79], v[84:85], s[16:17], v[78:79]
	v_add_f64 v[52:53], v[56:57], -v[60:61]
	v_add_f64 v[38:39], v[38:39], v[54:55]
	v_add_f64 v[54:55], v[54:55], -v[58:59]
	v_add_f64 v[40:41], v[40:41], v[56:57]
	v_fma_f64 v[56:57], v[110:111], s[16:17], v[80:81]
	v_add_f64 v[52:53], v[48:49], v[52:53]
	v_add_f64 v[38:39], v[38:39], v[58:59]
	v_fma_f64 v[58:59], v[110:111], s[12:13], v[80:81]
	v_add_f64 v[54:55], v[46:47], v[54:55]
	v_fma_f64 v[46:47], v[82:83], s[2:3], v[50:51]
	v_fma_f64 v[50:51], v[82:83], s[4:5], v[78:79]
	v_fma_f64 v[48:49], v[108:109], s[4:5], v[56:57]
	v_add_f64 v[40:41], v[40:41], v[60:61]
	v_add_f64 v[80:81], v[64:65], -v[76:77]
	v_add_f64 v[82:83], v[68:69], -v[72:73]
	;; [unrolled: 1-line block ×3, first 2 shown]
	v_fma_f64 v[56:57], v[108:109], s[2:3], v[58:59]
	v_add_f64 v[108:109], v[62:63], -v[74:75]
	v_fma_f64 v[46:47], v[54:55], s[0:1], v[46:47]
	v_fma_f64 v[50:51], v[54:55], s[0:1], v[50:51]
	v_fma_f64 v[48:49], v[52:53], s[0:1], v[48:49]
	v_add_f64 v[54:55], v[62:63], -v[66:67]
	v_fma_f64 v[52:53], v[52:53], s[0:1], v[56:57]
	v_add_f64 v[56:57], v[74:75], -v[70:71]
	v_add_f64 v[58:59], v[54:55], v[56:57]
	v_add_f64 v[54:55], v[64:65], -v[68:69]
	v_add_f64 v[56:57], v[76:77], -v[72:73]
	v_add_f64 v[60:61], v[54:55], v[56:57]
	v_add_f64 v[54:55], v[66:67], v[70:71]
	;; [unrolled: 1-line block ×3, first 2 shown]
	s_waitcnt lgkmcnt(0)
	v_fma_f64 v[78:79], v[54:55], -0.5, v[42:43]
	v_fma_f64 v[84:85], v[56:57], -0.5, v[44:45]
	v_fma_f64 v[54:55], v[80:81], s[16:17], v[78:79]
	v_fma_f64 v[78:79], v[80:81], s[12:13], v[78:79]
	;; [unrolled: 1-line block ×10, first 2 shown]
	v_add_f64 v[78:79], v[62:63], v[74:75]
	v_fma_f64 v[56:57], v[60:61], s[0:1], v[56:57]
	v_fma_f64 v[60:61], v[60:61], s[0:1], v[84:85]
	v_add_f64 v[84:85], v[64:65], v[76:77]
	v_fma_f64 v[78:79], v[78:79], -0.5, v[42:43]
	v_add_f64 v[42:43], v[42:43], v[62:63]
	v_add_f64 v[62:63], v[66:67], -v[62:63]
	v_fma_f64 v[84:85], v[84:85], -0.5, v[44:45]
	v_add_f64 v[44:45], v[44:45], v[64:65]
	v_add_f64 v[64:65], v[68:69], -v[64:65]
	v_add_f64 v[42:43], v[42:43], v[66:67]
	v_fma_f64 v[66:67], v[82:83], s[12:13], v[78:79]
	v_fma_f64 v[78:79], v[82:83], s[16:17], v[78:79]
	v_add_f64 v[44:45], v[44:45], v[68:69]
	v_add_f64 v[68:69], v[72:73], -v[76:77]
	v_add_f64 v[42:43], v[42:43], v[70:71]
	v_add_f64 v[70:71], v[70:71], -v[74:75]
	v_add_f64 v[44:45], v[44:45], v[72:73]
	v_fma_f64 v[72:73], v[110:111], s[16:17], v[84:85]
	v_add_f64 v[68:69], v[64:65], v[68:69]
	v_add_f64 v[42:43], v[42:43], v[74:75]
	v_fma_f64 v[74:75], v[110:111], s[12:13], v[84:85]
	v_add_f64 v[70:71], v[62:63], v[70:71]
	v_fma_f64 v[62:63], v[80:81], s[2:3], v[66:67]
	v_fma_f64 v[66:67], v[80:81], s[4:5], v[78:79]
	;; [unrolled: 1-line block ×3, first 2 shown]
	v_add_f64 v[78:79], v[90:91], v[94:95]
	v_add_f64 v[44:45], v[44:45], v[76:77]
	v_add_f64 v[110:111], v[88:89], -v[100:101]
	v_add_f64 v[80:81], v[92:93], v[96:97]
	v_fma_f64 v[72:73], v[108:109], s[2:3], v[74:75]
	v_fma_f64 v[62:63], v[70:71], s[0:1], v[62:63]
	;; [unrolled: 1-line block ×4, first 2 shown]
	v_add_f64 v[70:71], v[86:87], -v[90:91]
	v_fma_f64 v[68:69], v[68:69], s[0:1], v[72:73]
	v_add_f64 v[72:73], v[98:99], -v[94:95]
	v_add_f64 v[82:83], v[70:71], v[72:73]
	v_add_f64 v[70:71], v[88:89], -v[92:93]
	v_add_f64 v[72:73], v[100:101], -v[96:97]
	v_add_f64 v[84:85], v[70:71], v[72:73]
	ds_read_b128 v[70:73], v156 offset:544
	ds_read_b128 v[74:77], v156 offset:816
	s_waitcnt lgkmcnt(0)
	s_barrier
	buffer_gl0_inv
	v_fma_f64 v[108:109], v[78:79], -0.5, v[70:71]
	v_fma_f64 v[114:115], v[80:81], -0.5, v[72:73]
	v_fma_f64 v[78:79], v[110:111], s[16:17], v[108:109]
	v_fma_f64 v[108:109], v[110:111], s[12:13], v[108:109]
	;; [unrolled: 1-line block ×10, first 2 shown]
	v_add_f64 v[108:109], v[86:87], v[98:99]
	v_fma_f64 v[80:81], v[84:85], s[0:1], v[80:81]
	v_fma_f64 v[84:85], v[84:85], s[0:1], v[114:115]
	v_add_f64 v[114:115], v[88:89], v[100:101]
	v_fma_f64 v[108:109], v[108:109], -0.5, v[70:71]
	v_add_f64 v[70:71], v[70:71], v[86:87]
	v_add_f64 v[86:87], v[90:91], -v[86:87]
	v_fma_f64 v[114:115], v[114:115], -0.5, v[72:73]
	v_add_f64 v[72:73], v[72:73], v[88:89]
	v_add_f64 v[88:89], v[92:93], -v[88:89]
	v_add_f64 v[70:71], v[70:71], v[90:91]
	v_fma_f64 v[90:91], v[112:113], s[12:13], v[108:109]
	v_fma_f64 v[108:109], v[112:113], s[16:17], v[108:109]
	v_add_f64 v[72:73], v[72:73], v[92:93]
	v_add_f64 v[92:93], v[96:97], -v[100:101]
	v_add_f64 v[112:113], v[30:31], -v[34:35]
	v_add_f64 v[70:71], v[70:71], v[94:95]
	v_add_f64 v[94:95], v[94:95], -v[98:99]
	v_add_f64 v[72:73], v[72:73], v[96:97]
	v_fma_f64 v[96:97], v[118:119], s[16:17], v[114:115]
	v_add_f64 v[92:93], v[88:89], v[92:93]
	v_add_f64 v[70:71], v[70:71], v[98:99]
	v_fma_f64 v[98:99], v[118:119], s[12:13], v[114:115]
	v_add_f64 v[94:95], v[86:87], v[94:95]
	v_fma_f64 v[86:87], v[110:111], s[2:3], v[90:91]
	v_fma_f64 v[90:91], v[110:111], s[4:5], v[108:109]
	;; [unrolled: 1-line block ×3, first 2 shown]
	v_add_f64 v[72:73], v[72:73], v[100:101]
	v_add_f64 v[110:111], v[28:29], -v[106:107]
	v_add_f64 v[118:119], v[36:37], -v[102:103]
	v_fma_f64 v[96:97], v[116:117], s[2:3], v[98:99]
	v_add_f64 v[116:117], v[32:33], -v[104:105]
	v_fma_f64 v[86:87], v[94:95], s[0:1], v[86:87]
	v_fma_f64 v[90:91], v[94:95], s[0:1], v[90:91]
	;; [unrolled: 1-line block ×3, first 2 shown]
	v_add_f64 v[94:95], v[32:33], -v[36:37]
	v_fma_f64 v[92:93], v[92:93], s[0:1], v[96:97]
	v_add_f64 v[96:97], v[104:105], -v[102:103]
	v_add_f64 v[98:99], v[94:95], v[96:97]
	v_add_f64 v[94:95], v[28:29], -v[30:31]
	v_add_f64 v[96:97], v[106:107], -v[34:35]
	v_add_f64 v[100:101], v[94:95], v[96:97]
	v_add_f64 v[94:95], v[36:37], v[102:103]
	;; [unrolled: 1-line block ×3, first 2 shown]
	v_fma_f64 v[108:109], v[94:95], -0.5, v[74:75]
	v_fma_f64 v[114:115], v[96:97], -0.5, v[76:77]
	v_fma_f64 v[94:95], v[110:111], s[16:17], v[108:109]
	v_fma_f64 v[108:109], v[110:111], s[12:13], v[108:109]
	v_fma_f64 v[96:97], v[116:117], s[12:13], v[114:115]
	v_fma_f64 v[114:115], v[116:117], s[16:17], v[114:115]
	v_fma_f64 v[94:95], v[112:113], s[2:3], v[94:95]
	v_fma_f64 v[108:109], v[112:113], s[4:5], v[108:109]
	v_fma_f64 v[96:97], v[118:119], s[4:5], v[96:97]
	v_fma_f64 v[114:115], v[118:119], s[2:3], v[114:115]
	v_fma_f64 v[94:95], v[98:99], s[0:1], v[94:95]
	v_fma_f64 v[98:99], v[98:99], s[0:1], v[108:109]
	v_add_f64 v[108:109], v[32:33], v[104:105]
	v_fma_f64 v[96:97], v[100:101], s[0:1], v[96:97]
	v_fma_f64 v[100:101], v[100:101], s[0:1], v[114:115]
	v_add_f64 v[114:115], v[28:29], v[106:107]
	v_fma_f64 v[108:109], v[108:109], -0.5, v[74:75]
	v_add_f64 v[74:75], v[74:75], v[32:33]
	v_add_f64 v[32:33], v[36:37], -v[32:33]
	v_fma_f64 v[114:115], v[114:115], -0.5, v[76:77]
	v_add_f64 v[76:77], v[76:77], v[28:29]
	v_add_f64 v[28:29], v[30:31], -v[28:29]
	v_add_f64 v[74:75], v[74:75], v[36:37]
	v_fma_f64 v[36:37], v[112:113], s[12:13], v[108:109]
	v_fma_f64 v[108:109], v[112:113], s[16:17], v[108:109]
	v_add_f64 v[76:77], v[76:77], v[30:31]
	v_add_f64 v[30:31], v[34:35], -v[106:107]
	v_add_f64 v[112:113], v[14:15], -v[18:19]
	v_add_f64 v[74:75], v[74:75], v[102:103]
	v_add_f64 v[102:103], v[102:103], -v[104:105]
	v_fma_f64 v[36:37], v[110:111], s[2:3], v[36:37]
	v_add_f64 v[76:77], v[76:77], v[34:35]
	v_fma_f64 v[34:35], v[118:119], s[16:17], v[114:115]
	v_add_f64 v[74:75], v[74:75], v[104:105]
	v_add_f64 v[32:33], v[32:33], v[102:103]
	v_fma_f64 v[102:103], v[110:111], s[4:5], v[108:109]
	v_add_f64 v[76:77], v[76:77], v[106:107]
	v_fma_f64 v[104:105], v[118:119], s[12:13], v[114:115]
	;; [unrolled: 2-line block ×3, first 2 shown]
	v_add_f64 v[110:111], v[12:13], -v[24:25]
	v_add_f64 v[118:119], v[20:21], -v[22:23]
	v_fma_f64 v[28:29], v[32:33], s[0:1], v[36:37]
	v_fma_f64 v[32:33], v[32:33], s[0:1], v[102:103]
	v_add_f64 v[36:37], v[16:17], -v[20:21]
	v_add_f64 v[102:103], v[26:27], -v[22:23]
	v_fma_f64 v[34:35], v[116:117], s[2:3], v[104:105]
	v_add_f64 v[104:105], v[24:25], -v[18:19]
	v_add_f64 v[116:117], v[16:17], -v[26:27]
	v_fma_f64 v[30:31], v[106:107], s[0:1], v[30:31]
	v_add_f64 v[36:37], v[36:37], v[102:103]
	v_add_f64 v[102:103], v[12:13], -v[14:15]
	v_fma_f64 v[34:35], v[106:107], s[0:1], v[34:35]
	v_add_f64 v[108:109], v[102:103], v[104:105]
	v_add_f64 v[104:105], v[14:15], v[18:19]
	;; [unrolled: 1-line block ×3, first 2 shown]
	v_fma_f64 v[114:115], v[104:105], -0.5, v[2:3]
	v_fma_f64 v[106:107], v[102:103], -0.5, v[0:1]
	v_fma_f64 v[104:105], v[116:117], s[12:13], v[114:115]
	v_fma_f64 v[114:115], v[116:117], s[16:17], v[114:115]
	;; [unrolled: 1-line block ×10, first 2 shown]
	v_add_f64 v[114:115], v[12:13], v[24:25]
	v_fma_f64 v[102:103], v[36:37], s[0:1], v[102:103]
	v_fma_f64 v[106:107], v[36:37], s[0:1], v[106:107]
	v_add_f64 v[36:37], v[16:17], v[26:27]
	v_fma_f64 v[114:115], v[114:115], -0.5, v[2:3]
	v_add_f64 v[2:3], v[2:3], v[12:13]
	v_add_f64 v[12:13], v[14:15], -v[12:13]
	v_fma_f64 v[36:37], v[36:37], -0.5, v[0:1]
	v_add_f64 v[0:1], v[0:1], v[16:17]
	v_add_f64 v[16:17], v[20:21], -v[16:17]
	v_add_f64 v[2:3], v[2:3], v[14:15]
	v_add_f64 v[14:15], v[18:19], -v[24:25]
	v_add_f64 v[0:1], v[0:1], v[20:21]
	v_fma_f64 v[20:21], v[112:113], s[12:13], v[36:37]
	v_fma_f64 v[36:37], v[112:113], s[16:17], v[36:37]
	v_add_f64 v[2:3], v[2:3], v[18:19]
	v_fma_f64 v[18:19], v[118:119], s[16:17], v[114:115]
	v_add_f64 v[0:1], v[0:1], v[22:23]
	v_add_f64 v[22:23], v[22:23], -v[26:27]
	v_fma_f64 v[20:21], v[110:111], s[2:3], v[20:21]
	v_add_f64 v[2:3], v[2:3], v[24:25]
	v_fma_f64 v[24:25], v[118:119], s[12:13], v[114:115]
	v_add_f64 v[0:1], v[0:1], v[26:27]
	v_add_f64 v[16:17], v[16:17], v[22:23]
	v_fma_f64 v[22:23], v[110:111], s[4:5], v[36:37]
	v_add_f64 v[26:27], v[12:13], v[14:15]
	v_fma_f64 v[14:15], v[116:117], s[4:5], v[18:19]
	v_fma_f64 v[18:19], v[116:117], s[2:3], v[24:25]
	;; [unrolled: 1-line block ×6, first 2 shown]
	ds_write_b128 v156, v[38:41]
	ds_write_b128 v156, v[8:11] offset:272
	ds_write_b128 v156, v[46:49] offset:544
	ds_write_b128 v156, v[50:53] offset:816
	ds_write_b128 v156, v[4:7] offset:1088
	ds_write_b128 v156, v[42:45] offset:1360
	ds_write_b128 v156, v[54:57] offset:1632
	ds_write_b128 v156, v[62:65] offset:1904
	ds_write_b128 v156, v[66:69] offset:2176
	ds_write_b128 v156, v[58:61] offset:2448
	ds_write_b128 v194, v[70:73] offset:2720
	ds_write_b128 v194, v[78:81] offset:2992
	ds_write_b128 v194, v[86:89] offset:3264
	ds_write_b128 v194, v[90:93] offset:3536
	ds_write_b128 v194, v[82:85] offset:3808
	ds_write_b128 v233, v[74:77] offset:4080
	ds_write_b128 v233, v[94:97] offset:4352
	ds_write_b128 v233, v[28:31] offset:4624
	ds_write_b128 v233, v[32:35] offset:4896
	ds_write_b128 v233, v[98:101] offset:5168
	ds_write_b128 v234, v[0:3] offset:5440
	ds_write_b128 v234, v[102:105] offset:5712
	ds_write_b128 v234, v[12:15] offset:5984
	ds_write_b128 v234, v[16:19] offset:6256
	ds_write_b128 v234, v[106:109] offset:6528
	s_waitcnt lgkmcnt(0)
	s_barrier
	buffer_gl0_inv
	ds_read_b128 v[12:15], v156 offset:1360
	ds_read_b128 v[16:19], v156 offset:2720
	;; [unrolled: 1-line block ×6, first 2 shown]
	s_clause 0x3
	buffer_load_dword v94, off, s[60:63], 0 offset:592
	buffer_load_dword v95, off, s[60:63], 0 offset:596
	;; [unrolled: 1-line block ×4, first 2 shown]
	ds_read_b128 v[32:35], v156
	ds_read_b128 v[36:39], v156 offset:272
	ds_read_b128 v[40:43], v156 offset:2992
	s_clause 0x3
	buffer_load_dword v100, off, s[60:63], 0 offset:576
	buffer_load_dword v101, off, s[60:63], 0 offset:580
	;; [unrolled: 1-line block ×4, first 2 shown]
	ds_read_b128 v[44:47], v156 offset:4352
	ds_read_b128 v[48:51], v156 offset:5712
	;; [unrolled: 1-line block ×3, first 2 shown]
	s_clause 0x3
	buffer_load_dword v104, off, s[60:63], 0 offset:560
	buffer_load_dword v105, off, s[60:63], 0 offset:564
	;; [unrolled: 1-line block ×4, first 2 shown]
	ds_read_b128 v[56:59], v156 offset:1904
	ds_read_b128 v[60:63], v156 offset:4624
	s_clause 0x3
	buffer_load_dword v116, off, s[60:63], 0 offset:672
	buffer_load_dword v117, off, s[60:63], 0 offset:676
	;; [unrolled: 1-line block ×4, first 2 shown]
	ds_read_b128 v[8:11], v156 offset:544
	ds_read_b128 v[4:7], v156 offset:816
	;; [unrolled: 1-line block ×4, first 2 shown]
	s_clause 0x3
	buffer_load_dword v128, off, s[60:63], 0 offset:640
	buffer_load_dword v129, off, s[60:63], 0 offset:644
	;; [unrolled: 1-line block ×4, first 2 shown]
	s_waitcnt lgkmcnt(14)
	v_mul_f64 v[84:85], v[231:232], v[26:27]
	v_mul_f64 v[86:87], v[231:232], v[24:25]
	v_fma_f64 v[84:85], v[229:230], v[24:25], v[84:85]
	v_fma_f64 v[86:87], v[229:230], v[26:27], -v[86:87]
	s_waitcnt vmcnt(16)
	v_mul_f64 v[72:73], v[96:97], v[14:15]
	v_mul_f64 v[74:75], v[96:97], v[12:13]
	s_waitcnt vmcnt(12)
	v_mul_f64 v[76:77], v[102:103], v[18:19]
	v_mul_f64 v[78:79], v[102:103], v[16:17]
	s_waitcnt vmcnt(8)
	v_mul_f64 v[80:81], v[106:107], v[22:23]
	v_mul_f64 v[82:83], v[106:107], v[20:21]
	s_waitcnt vmcnt(4) lgkmcnt(13)
	v_mul_f64 v[88:89], v[118:119], v[30:31]
	v_mul_f64 v[92:93], v[118:119], v[28:29]
	s_waitcnt vmcnt(0) lgkmcnt(9)
	v_mul_f64 v[96:97], v[130:131], v[42:43]
	v_mul_f64 v[98:99], v[130:131], v[40:41]
	v_fma_f64 v[90:91], v[94:95], v[12:13], v[72:73]
	v_fma_f64 v[94:95], v[94:95], v[14:15], -v[74:75]
	ds_read_b128 v[12:15], v156 offset:5984
	ds_read_b128 v[72:75], v156 offset:6256
	s_clause 0xb
	buffer_load_dword v124, off, s[60:63], 0 offset:624
	buffer_load_dword v125, off, s[60:63], 0 offset:628
	;; [unrolled: 1-line block ×12, first 2 shown]
	v_fma_f64 v[76:77], v[100:101], v[16:17], v[76:77]
	v_fma_f64 v[78:79], v[100:101], v[18:19], -v[78:79]
	ds_read_b128 v[16:19], v156 offset:2176
	s_clause 0x7
	buffer_load_dword v136, off, s[60:63], 0 offset:704
	buffer_load_dword v137, off, s[60:63], 0 offset:708
	;; [unrolled: 1-line block ×8, first 2 shown]
	v_fma_f64 v[80:81], v[104:105], v[20:21], v[80:81]
	v_fma_f64 v[82:83], v[104:105], v[22:23], -v[82:83]
	v_fma_f64 v[88:89], v[116:117], v[28:29], v[88:89]
	v_fma_f64 v[92:93], v[116:117], v[30:31], -v[92:93]
	ds_read_b128 v[20:23], v156 offset:2448
	ds_read_b128 v[24:27], v156 offset:4896
	v_fma_f64 v[96:97], v[128:129], v[40:41], v[96:97]
	v_fma_f64 v[98:99], v[128:129], v[42:43], -v[98:99]
	ds_read_b128 v[28:31], v156 offset:5168
	s_clause 0x3
	buffer_load_dword v128, off, s[60:63], 0 offset:656
	buffer_load_dword v129, off, s[60:63], 0 offset:660
	;; [unrolled: 1-line block ×4, first 2 shown]
	ds_read_b128 v[40:43], v156 offset:6528
	s_clause 0x3
	buffer_load_dword v146, off, s[60:63], 0 offset:768
	buffer_load_dword v147, off, s[60:63], 0 offset:772
	;; [unrolled: 1-line block ×4, first 2 shown]
	s_waitcnt vmcnt(24) lgkmcnt(15)
	v_mul_f64 v[100:101], v[126:127], v[46:47]
	v_mul_f64 v[102:103], v[126:127], v[44:45]
	s_waitcnt vmcnt(16) lgkmcnt(12)
	v_mul_f64 v[108:109], v[142:143], v[58:59]
	v_mul_f64 v[110:111], v[142:143], v[56:57]
	s_clause 0x3
	buffer_load_dword v142, off, s[60:63], 0 offset:752
	buffer_load_dword v143, off, s[60:63], 0 offset:756
	;; [unrolled: 1-line block ×4, first 2 shown]
	v_mul_f64 v[104:105], v[122:123], v[50:51]
	s_waitcnt vmcnt(16) lgkmcnt(8)
	v_mul_f64 v[112:113], v[138:139], v[66:67]
	v_mul_f64 v[114:115], v[138:139], v[64:65]
	s_waitcnt vmcnt(12)
	v_mul_f64 v[116:117], v[134:135], v[62:63]
	v_mul_f64 v[106:107], v[122:123], v[48:49]
	;; [unrolled: 1-line block ×3, first 2 shown]
	s_waitcnt lgkmcnt(5)
	v_mul_f64 v[122:123], v[215:216], v[72:73]
	s_waitcnt lgkmcnt(3)
	v_mul_f64 v[126:127], v[246:247], v[20:21]
	v_add_f64 v[134:135], v[78:79], v[82:83]
	v_fma_f64 v[44:45], v[124:125], v[44:45], v[100:101]
	v_fma_f64 v[46:47], v[124:125], v[46:47], -v[102:103]
	v_fma_f64 v[56:57], v[140:141], v[56:57], v[108:109]
	v_fma_f64 v[108:109], v[140:141], v[58:59], -v[110:111]
	s_clause 0x3
	buffer_load_dword v138, off, s[60:63], 0 offset:736
	buffer_load_dword v139, off, s[60:63], 0 offset:740
	;; [unrolled: 1-line block ×4, first 2 shown]
	s_waitcnt vmcnt(12)
	v_mul_f64 v[100:101], v[130:131], v[14:15]
	v_mul_f64 v[102:103], v[130:131], v[12:13]
	v_fma_f64 v[48:49], v[120:121], v[48:49], v[104:105]
	v_add_f64 v[104:105], v[76:77], v[80:81]
	s_waitcnt vmcnt(8)
	v_mul_f64 v[58:59], v[148:149], v[16:17]
	v_fma_f64 v[66:67], v[136:137], v[66:67], -v[114:115]
	v_fma_f64 v[60:61], v[132:133], v[60:61], v[116:117]
	v_add_f64 v[116:117], v[90:91], v[84:85]
	v_fma_f64 v[50:51], v[120:121], v[50:51], -v[106:107]
	v_mul_f64 v[106:107], v[148:149], v[18:19]
	v_fma_f64 v[64:65], v[136:137], v[64:65], v[112:113]
	v_fma_f64 v[62:63], v[132:133], v[62:63], -v[118:119]
	v_mul_f64 v[120:121], v[215:216], v[74:75]
	v_mul_f64 v[124:125], v[246:247], v[22:23]
	v_add_f64 v[130:131], v[32:33], v[90:91]
	v_add_f64 v[132:133], v[94:95], -v[86:87]
	s_waitcnt lgkmcnt(1)
	v_mul_f64 v[136:137], v[238:239], v[30:31]
	v_fma_f64 v[100:101], v[128:129], v[12:13], v[100:101]
	v_fma_f64 v[102:103], v[128:129], v[14:15], -v[102:103]
	v_mul_f64 v[128:129], v[242:243], v[54:55]
	v_fma_f64 v[104:105], v[104:105], -0.5, v[32:33]
	v_fma_f64 v[18:19], v[146:147], v[18:19], -v[58:59]
	v_mul_f64 v[58:59], v[242:243], v[52:53]
	v_fma_f64 v[12:13], v[213:214], v[74:75], -v[122:123]
	v_fma_f64 v[32:33], v[116:117], -0.5, v[32:33]
	v_fma_f64 v[116:117], v[244:245], v[22:23], -v[126:127]
	v_fma_f64 v[106:107], v[146:147], v[16:17], v[106:107]
	v_mul_f64 v[22:23], v[238:239], v[28:29]
	v_add_f64 v[122:123], v[90:91], -v[84:85]
	v_fma_f64 v[14:15], v[213:214], v[72:73], v[120:121]
	v_fma_f64 v[74:75], v[244:245], v[20:21], v[124:125]
	v_add_f64 v[20:21], v[96:97], v[44:45]
	v_add_f64 v[72:73], v[34:35], v[94:95]
	v_fma_f64 v[120:121], v[134:135], -0.5, v[34:35]
	v_fma_f64 v[126:127], v[236:237], v[28:29], v[136:137]
	v_add_f64 v[28:29], v[76:77], -v[80:81]
	v_add_f64 v[134:135], v[92:93], -v[50:51]
	v_fma_f64 v[124:125], v[240:241], v[54:55], -v[58:59]
	v_add_f64 v[54:55], v[90:91], -v[76:77]
	v_add_f64 v[58:59], v[84:85], -v[80:81]
	v_fma_f64 v[136:137], v[236:237], v[30:31], -v[22:23]
	s_waitcnt lgkmcnt(0)
	v_mul_f64 v[22:23], v[227:228], v[40:41]
	v_add_f64 v[152:153], v[116:117], -v[124:125]
	v_add_f64 v[54:55], v[54:55], v[58:59]
	s_waitcnt vmcnt(4)
	v_mul_f64 v[110:111], v[144:145], v[70:71]
	v_mul_f64 v[112:113], v[144:145], v[68:69]
	v_add_f64 v[144:145], v[106:107], v[14:15]
	s_waitcnt vmcnt(0)
	v_mul_f64 v[114:115], v[140:141], v[26:27]
	v_mul_f64 v[118:119], v[140:141], v[24:25]
	v_fma_f64 v[110:111], v[142:143], v[68:69], v[110:111]
	v_add_f64 v[68:69], v[94:95], v[86:87]
	v_fma_f64 v[112:113], v[142:143], v[70:71], -v[112:113]
	v_fma_f64 v[70:71], v[132:133], s[16:17], v[104:105]
	v_fma_f64 v[140:141], v[225:226], v[42:43], -v[22:23]
	v_fma_f64 v[114:115], v[138:139], v[24:25], v[114:115]
	v_add_f64 v[24:25], v[78:79], -v[82:83]
	v_fma_f64 v[16:17], v[138:139], v[26:27], -v[118:119]
	v_mul_f64 v[26:27], v[227:228], v[42:43]
	v_fma_f64 v[118:119], v[240:241], v[52:53], v[128:129]
	v_add_f64 v[52:53], v[130:131], v[76:77]
	v_fma_f64 v[34:35], v[68:69], -0.5, v[34:35]
	v_fma_f64 v[68:69], v[132:133], s[12:13], v[104:105]
	v_add_f64 v[76:77], v[76:77], -v[90:91]
	v_add_f64 v[90:91], v[80:81], -v[84:85]
	v_add_f64 v[128:129], v[36:37], v[88:89]
	v_fma_f64 v[130:131], v[20:21], -0.5, v[36:37]
	v_add_f64 v[154:155], v[140:141], -v[136:137]
	v_fma_f64 v[104:105], v[24:25], s[12:13], v[32:33]
	v_fma_f64 v[32:33], v[24:25], s[16:17], v[32:33]
	;; [unrolled: 1-line block ×4, first 2 shown]
	v_add_f64 v[26:27], v[52:53], v[80:81]
	v_add_f64 v[40:41], v[88:89], v[48:49]
	;; [unrolled: 1-line block ×3, first 2 shown]
	v_fma_f64 v[70:71], v[122:123], s[12:13], v[120:121]
	v_add_f64 v[72:73], v[94:95], -v[78:79]
	v_add_f64 v[80:81], v[86:87], -v[82:83]
	v_fma_f64 v[120:121], v[122:123], s[16:17], v[120:121]
	v_fma_f64 v[138:139], v[28:29], s[16:17], v[34:35]
	v_add_f64 v[78:79], v[78:79], -v[94:95]
	v_add_f64 v[94:95], v[82:83], -v[86:87]
	v_fma_f64 v[34:35], v[28:29], s[12:13], v[34:35]
	v_fma_f64 v[24:25], v[24:25], s[4:5], v[68:69]
	v_add_f64 v[68:69], v[76:77], v[90:91]
	v_add_f64 v[76:77], v[128:129], v[96:97]
	v_fma_f64 v[90:91], v[134:135], s[16:17], v[130:131]
	v_add_f64 v[128:129], v[88:89], -v[96:97]
	v_fma_f64 v[130:131], v[134:135], s[12:13], v[130:131]
	v_fma_f64 v[58:59], v[132:133], s[2:3], v[104:105]
	;; [unrolled: 1-line block ×3, first 2 shown]
	v_add_f64 v[104:105], v[98:99], -v[46:47]
	v_add_f64 v[132:133], v[48:49], -v[44:45]
	v_add_f64 v[22:23], v[26:27], v[84:85]
	v_fma_f64 v[142:143], v[40:41], -0.5, v[36:37]
	v_add_f64 v[36:37], v[98:99], v[46:47]
	v_add_f64 v[42:43], v[52:53], v[82:83]
	v_fma_f64 v[52:53], v[28:29], s[4:5], v[70:71]
	v_add_f64 v[70:71], v[72:73], v[80:81]
	v_add_f64 v[80:81], v[92:93], v[50:51]
	v_fma_f64 v[72:73], v[28:29], s[2:3], v[120:121]
	v_fma_f64 v[82:83], v[122:123], s[4:5], v[138:139]
	v_add_f64 v[78:79], v[78:79], v[94:95]
	v_fma_f64 v[94:95], v[122:123], s[2:3], v[34:35]
	v_fma_f64 v[26:27], v[54:55], s[0:1], v[30:31]
	;; [unrolled: 1-line block ×3, first 2 shown]
	v_add_f64 v[54:55], v[38:39], v[92:93]
	v_add_f64 v[120:121], v[56:57], v[100:101]
	v_add_f64 v[138:139], v[60:61], -v[100:101]
	v_add_f64 v[146:147], v[20:21], -v[126:127]
	v_fma_f64 v[34:35], v[68:69], s[0:1], v[58:59]
	v_add_f64 v[58:59], v[64:65], v[60:61]
	v_fma_f64 v[40:41], v[68:69], s[0:1], v[32:33]
	v_add_f64 v[68:69], v[76:77], v[44:45]
	;; [unrolled: 2-line block ×3, first 2 shown]
	v_fma_f64 v[90:91], v[104:105], s[4:5], v[130:131]
	v_fma_f64 v[128:129], v[36:37], -0.5, v[38:39]
	v_add_f64 v[130:131], v[88:89], -v[48:49]
	v_fma_f64 v[28:29], v[70:71], s[0:1], v[52:53]
	v_add_f64 v[52:53], v[96:97], -v[44:45]
	v_fma_f64 v[38:39], v[80:81], -0.5, v[38:39]
	v_fma_f64 v[122:123], v[104:105], s[12:13], v[142:143]
	v_add_f64 v[24:25], v[42:43], v[86:87]
	v_fma_f64 v[32:33], v[70:71], s[0:1], v[72:73]
	v_fma_f64 v[36:37], v[78:79], s[0:1], v[82:83]
	;; [unrolled: 1-line block ×3, first 2 shown]
	v_add_f64 v[70:71], v[96:97], -v[88:89]
	v_add_f64 v[72:73], v[66:67], v[62:63]
	v_add_f64 v[78:79], v[44:45], -v[48:49]
	v_fma_f64 v[80:81], v[104:105], s[16:17], v[142:143]
	v_add_f64 v[54:55], v[54:55], v[98:99]
	v_add_f64 v[82:83], v[8:9], v[56:57]
	v_fma_f64 v[58:59], v[58:59], -0.5, v[8:9]
	v_add_f64 v[86:87], v[108:109], -v[102:103]
	v_add_f64 v[44:45], v[68:69], v[48:49]
	v_add_f64 v[68:69], v[66:67], -v[62:63]
	v_fma_f64 v[48:49], v[84:85], s[0:1], v[76:77]
	v_fma_f64 v[76:77], v[120:121], -0.5, v[8:9]
	v_fma_f64 v[8:9], v[84:85], s[0:1], v[90:91]
	v_add_f64 v[90:91], v[92:93], -v[98:99]
	v_add_f64 v[94:95], v[50:51], -v[46:47]
	v_fma_f64 v[96:97], v[130:131], s[16:17], v[128:129]
	v_fma_f64 v[104:105], v[52:53], s[16:17], v[38:39]
	;; [unrolled: 1-line block ×4, first 2 shown]
	v_add_f64 v[92:93], v[98:99], -v[92:93]
	v_add_f64 v[98:99], v[46:47], -v[50:51]
	v_fma_f64 v[38:39], v[52:53], s[12:13], v[38:39]
	v_add_f64 v[120:121], v[10:11], v[108:109]
	v_fma_f64 v[72:73], v[72:73], -0.5, v[10:11]
	v_add_f64 v[122:123], v[56:57], -v[100:101]
	v_add_f64 v[70:71], v[70:71], v[78:79]
	v_fma_f64 v[78:79], v[134:135], s[4:5], v[80:81]
	v_add_f64 v[46:47], v[54:55], v[46:47]
	v_add_f64 v[54:55], v[82:83], v[64:65]
	v_fma_f64 v[80:81], v[86:87], s[16:17], v[58:59]
	v_add_f64 v[82:83], v[56:57], -v[64:65]
	v_add_f64 v[128:129], v[100:101], -v[60:61]
	v_add_f64 v[134:135], v[108:109], v[102:103]
	v_fma_f64 v[58:59], v[86:87], s[12:13], v[58:59]
	v_fma_f64 v[132:133], v[68:69], s[12:13], v[76:77]
	v_add_f64 v[56:57], v[64:65], -v[56:57]
	v_add_f64 v[90:91], v[90:91], v[94:95]
	v_fma_f64 v[94:95], v[52:53], s[2:3], v[96:97]
	v_fma_f64 v[76:77], v[68:69], s[16:17], v[76:77]
	;; [unrolled: 1-line block ×3, first 2 shown]
	v_add_f64 v[104:105], v[110:111], v[114:115]
	v_fma_f64 v[88:89], v[52:53], s[4:5], v[88:89]
	v_add_f64 v[92:93], v[92:93], v[98:99]
	v_fma_f64 v[38:39], v[130:131], s[2:3], v[38:39]
	v_add_f64 v[98:99], v[120:121], v[66:67]
	v_add_f64 v[130:131], v[64:65], -v[60:61]
	v_fma_f64 v[120:121], v[122:123], s[12:13], v[72:73]
	v_add_f64 v[64:65], v[108:109], -v[66:67]
	v_add_f64 v[142:143], v[102:103], -v[62:63]
	v_fma_f64 v[72:73], v[122:123], s[16:17], v[72:73]
	v_fma_f64 v[52:53], v[70:71], s[0:1], v[84:85]
	;; [unrolled: 1-line block ×3, first 2 shown]
	v_add_f64 v[84:85], v[18:19], -v[12:13]
	v_add_f64 v[82:83], v[82:83], v[128:129]
	v_fma_f64 v[128:129], v[134:135], -0.5, v[10:11]
	v_fma_f64 v[68:69], v[68:69], s[4:5], v[58:59]
	v_add_f64 v[60:61], v[54:55], v[60:61]
	v_add_f64 v[134:135], v[56:57], v[138:139]
	v_fma_f64 v[56:57], v[70:71], s[0:1], v[78:79]
	v_fma_f64 v[132:133], v[86:87], s[2:3], v[132:133]
	;; [unrolled: 1-line block ×3, first 2 shown]
	v_add_f64 v[76:77], v[4:5], v[106:107]
	v_fma_f64 v[78:79], v[104:105], -0.5, v[4:5]
	v_add_f64 v[46:47], v[46:47], v[50:51]
	v_fma_f64 v[50:51], v[90:91], s[0:1], v[88:89]
	v_fma_f64 v[10:11], v[90:91], s[0:1], v[94:95]
	v_add_f64 v[86:87], v[98:99], v[62:63]
	v_fma_f64 v[58:59], v[92:93], s[0:1], v[38:39]
	v_fma_f64 v[54:55], v[92:93], s[0:1], v[96:97]
	v_add_f64 v[92:93], v[66:67], -v[108:109]
	v_add_f64 v[90:91], v[64:65], v[142:143]
	v_fma_f64 v[38:39], v[130:131], s[2:3], v[72:73]
	v_add_f64 v[98:99], v[62:63], -v[102:103]
	v_fma_f64 v[88:89], v[130:131], s[4:5], v[120:121]
	v_add_f64 v[108:109], v[18:19], v[12:13]
	v_fma_f64 v[64:65], v[82:83], s[0:1], v[80:81]
	v_fma_f64 v[80:81], v[130:131], s[16:17], v[128:129]
	;; [unrolled: 1-line block ×3, first 2 shown]
	v_add_f64 v[82:83], v[112:113], v[16:17]
	v_add_f64 v[94:95], v[112:113], -v[16:17]
	v_fma_f64 v[96:97], v[144:145], -0.5, v[4:5]
	v_add_f64 v[60:61], v[60:61], v[100:101]
	v_fma_f64 v[72:73], v[134:135], s[0:1], v[70:71]
	v_add_f64 v[76:77], v[76:77], v[110:111]
	v_fma_f64 v[104:105], v[84:85], s[16:17], v[78:79]
	v_fma_f64 v[78:79], v[84:85], s[12:13], v[78:79]
	;; [unrolled: 1-line block ×3, first 2 shown]
	v_add_f64 v[120:121], v[106:107], -v[110:111]
	v_add_f64 v[128:129], v[14:15], -v[114:115]
	v_add_f64 v[62:63], v[86:87], v[102:103]
	v_add_f64 v[86:87], v[118:119], v[126:127]
	v_fma_f64 v[4:5], v[134:135], s[0:1], v[132:133]
	v_add_f64 v[102:103], v[110:111], -v[106:107]
	v_fma_f64 v[70:71], v[90:91], s[0:1], v[38:39]
	v_add_f64 v[130:131], v[74:75], v[20:21]
	v_add_f64 v[132:133], v[114:115], -v[14:15]
	v_add_f64 v[92:93], v[92:93], v[98:99]
	v_add_f64 v[98:99], v[116:117], v[140:141]
	v_fma_f64 v[38:39], v[122:123], s[4:5], v[80:81]
	v_add_f64 v[80:81], v[124:125], v[136:137]
	v_fma_f64 v[66:67], v[90:91], s[0:1], v[88:89]
	v_add_f64 v[90:91], v[6:7], v[18:19]
	v_fma_f64 v[82:83], v[82:83], -0.5, v[6:7]
	v_add_f64 v[106:107], v[106:107], -v[14:15]
	v_add_f64 v[110:111], v[110:111], -v[114:115]
	v_fma_f64 v[6:7], v[108:109], -0.5, v[6:7]
	v_fma_f64 v[88:89], v[94:95], s[12:13], v[96:97]
	v_add_f64 v[76:77], v[76:77], v[114:115]
	v_fma_f64 v[104:105], v[94:95], s[2:3], v[104:105]
	v_add_f64 v[114:115], v[0:1], v[74:75]
	v_fma_f64 v[78:79], v[94:95], s[4:5], v[78:79]
	v_fma_f64 v[94:95], v[94:95], s[16:17], v[96:97]
	v_add_f64 v[96:97], v[2:3], v[116:117]
	v_add_f64 v[108:109], v[120:121], v[128:129]
	v_fma_f64 v[86:87], v[86:87], -0.5, v[0:1]
	v_add_f64 v[120:121], v[116:117], -v[140:141]
	v_add_f64 v[128:129], v[74:75], -v[20:21]
	v_fma_f64 v[100:101], v[122:123], s[2:3], v[100:101]
	v_add_f64 v[122:123], v[124:125], -v[136:137]
	v_fma_f64 v[0:1], v[130:131], -0.5, v[0:1]
	v_add_f64 v[102:103], v[102:103], v[132:133]
	v_fma_f64 v[80:81], v[80:81], -0.5, v[2:3]
	v_add_f64 v[132:133], v[118:119], -v[126:127]
	v_fma_f64 v[2:3], v[98:99], -0.5, v[2:3]
	v_add_f64 v[90:91], v[90:91], v[112:113]
	v_fma_f64 v[130:131], v[106:107], s[12:13], v[82:83]
	v_add_f64 v[98:99], v[18:19], -v[112:113]
	v_add_f64 v[134:135], v[12:13], -v[16:17]
	v_fma_f64 v[82:83], v[106:107], s[16:17], v[82:83]
	v_fma_f64 v[138:139], v[110:111], s[16:17], v[6:7]
	v_add_f64 v[18:19], v[112:113], -v[18:19]
	v_add_f64 v[112:113], v[16:17], -v[12:13]
	v_fma_f64 v[6:7], v[110:111], s[12:13], v[6:7]
	v_add_f64 v[114:115], v[114:115], v[118:119]
	v_add_f64 v[96:97], v[96:97], v[124:125]
	v_add_f64 v[144:145], v[74:75], -v[118:119]
	v_add_f64 v[74:75], v[118:119], -v[74:75]
	v_fma_f64 v[142:143], v[120:121], s[16:17], v[86:87]
	v_fma_f64 v[86:87], v[120:121], s[12:13], v[86:87]
	v_add_f64 v[118:119], v[126:127], -v[20:21]
	v_add_f64 v[116:117], v[124:125], -v[116:117]
	v_fma_f64 v[148:149], v[122:123], s[12:13], v[0:1]
	v_fma_f64 v[0:1], v[122:123], s[16:17], v[0:1]
	;; [unrolled: 1-line block ×5, first 2 shown]
	v_add_f64 v[124:125], v[136:137], -v[140:141]
	v_fma_f64 v[2:3], v[132:133], s[12:13], v[2:3]
	v_add_f64 v[16:17], v[90:91], v[16:17]
	v_fma_f64 v[88:89], v[84:85], s[2:3], v[88:89]
	v_fma_f64 v[84:85], v[84:85], s[4:5], v[94:95]
	;; [unrolled: 1-line block ×3, first 2 shown]
	v_add_f64 v[94:95], v[98:99], v[134:135]
	v_fma_f64 v[82:83], v[110:111], s[2:3], v[82:83]
	v_fma_f64 v[98:99], v[106:107], s[4:5], v[138:139]
	v_add_f64 v[18:19], v[18:19], v[112:113]
	v_fma_f64 v[106:107], v[106:107], s[2:3], v[6:7]
	v_add_f64 v[110:111], v[114:115], v[126:127]
	v_add_f64 v[130:131], v[96:97], v[136:137]
	v_fma_f64 v[112:113], v[122:123], s[2:3], v[142:143]
	v_add_f64 v[114:115], v[144:145], v[146:147]
	v_add_f64 v[136:137], v[152:153], v[154:155]
	v_fma_f64 v[122:123], v[122:123], s[4:5], v[86:87]
	v_fma_f64 v[126:127], v[120:121], s[2:3], v[148:149]
	v_add_f64 v[118:119], v[74:75], v[118:119]
	v_fma_f64 v[134:135], v[132:133], s[4:5], v[150:151]
	v_fma_f64 v[120:121], v[120:121], s[4:5], v[0:1]
	;; [unrolled: 1-line block ×4, first 2 shown]
	v_add_f64 v[116:117], v[116:117], v[124:125]
	v_fma_f64 v[124:125], v[128:129], s[2:3], v[2:3]
	v_fma_f64 v[6:7], v[92:93], s[0:1], v[38:39]
	;; [unrolled: 1-line block ×3, first 2 shown]
	v_add_f64 v[0:1], v[76:77], v[14:15]
	v_add_f64 v[2:3], v[16:17], v[12:13]
	v_fma_f64 v[14:15], v[108:109], s[0:1], v[104:105]
	v_fma_f64 v[16:17], v[94:95], s[0:1], v[90:91]
	;; [unrolled: 1-line block ×8, first 2 shown]
	v_add_f64 v[18:19], v[110:111], v[20:21]
	v_add_f64 v[20:21], v[130:131], v[140:141]
	v_fma_f64 v[88:89], v[114:115], s[0:1], v[112:113]
	v_fma_f64 v[92:93], v[114:115], s[0:1], v[122:123]
	;; [unrolled: 1-line block ×8, first 2 shown]
	ds_write_b128 v156, v[22:25]
	ds_write_b128 v159, v[26:29] offset:1360
	ds_write_b128 v159, v[34:37] offset:2720
	ds_write_b128 v159, v[40:43] offset:4080
	ds_write_b128 v159, v[30:33] offset:5440
	ds_write_b128 v159, v[44:47] offset:272
	ds_write_b128 v159, v[48:51] offset:1632
	ds_write_b128 v159, v[52:55] offset:2992
	ds_write_b128 v159, v[56:59] offset:4352
	ds_write_b128 v159, v[8:11] offset:5712
	ds_write_b128 v159, v[60:63] offset:544
	ds_write_b128 v235, v[64:67] offset:1360
	ds_write_b128 v235, v[4:7] offset:2720
	ds_write_b128 v235, v[72:75] offset:4080
	ds_write_b128 v235, v[68:71] offset:5440
	ds_write_b128 v159, v[0:3] offset:816
	ds_write_b128 v195, v[14:17] offset:1360
	ds_write_b128 v195, v[80:83] offset:2720
	ds_write_b128 v195, v[84:87] offset:4080
	ds_write_b128 v195, v[76:79] offset:5440
	ds_write_b128 v159, v[18:21] offset:1088
	ds_write_b128 v196, v[88:91] offset:1360
	ds_write_b128 v196, v[96:99] offset:2720
	ds_write_b128 v196, v[100:103] offset:4080
	ds_write_b128 v196, v[92:95] offset:5440
	s_waitcnt lgkmcnt(0)
	s_barrier
	buffer_gl0_inv
	ds_read_b128 v[0:3], v156
	ds_read_b128 v[4:7], v156 offset:400
	s_clause 0x6
	buffer_load_dword v21, off, s[60:63], 0 offset:272
	buffer_load_dword v22, off, s[60:63], 0 offset:276
	;; [unrolled: 1-line block ×6, first 2 shown]
	buffer_load_dword v20, off, s[60:63], 0
	s_mov_b32 s2, 0xace01346
	s_mov_b32 s3, 0x3f634679
	s_mul_hi_u32 s1, s8, 25
	s_waitcnt vmcnt(3) lgkmcnt(1)
	v_mul_f64 v[12:13], v[23:24], v[2:3]
	s_waitcnt vmcnt(2)
	v_mov_b32_e32 v17, v8
	s_waitcnt vmcnt(1)
	ds_read_b128 v[8:11], v156 offset:800
	s_clause 0x3
	buffer_load_dword v40, off, s[60:63], 0 offset:184
	buffer_load_dword v41, off, s[60:63], 0 offset:188
	;; [unrolled: 1-line block ×4, first 2 shown]
	v_mul_f64 v[14:15], v[23:24], v[0:1]
	s_waitcnt vmcnt(4)
	v_mad_u64_u32 v[32:33], null, s8, v20, 0
	v_mad_u64_u32 v[18:19], null, s10, v17, 0
	v_mov_b32_e32 v16, v19
	v_mad_u64_u32 v[16:17], null, s11, v17, v[16:17]
	v_fma_f64 v[0:1], v[21:22], v[0:1], v[12:13]
	v_mov_b32_e32 v17, v33
	v_fma_f64 v[2:3], v[21:22], v[2:3], -v[14:15]
	ds_read_b128 v[12:15], v156 offset:1200
	v_mad_u64_u32 v[26:27], null, s9, v20, v[17:18]
	v_mov_b32_e32 v19, v16
	v_mov_b32_e32 v33, v26
	v_mul_f64 v[16:17], v[0:1], s[2:3]
	v_lshlrev_b64 v[0:1], 4, v[18:19]
	v_mul_f64 v[18:19], v[2:3], s[2:3]
	v_add_co_u32 v2, s0, s14, v0
	v_add_co_ci_u32_e64 v3, s0, s15, v1, s0
	s_waitcnt vmcnt(0) lgkmcnt(2)
	v_mul_f64 v[24:25], v[42:43], v[6:7]
	v_mul_f64 v[34:35], v[42:43], v[4:5]
	s_clause 0x3
	buffer_load_dword v42, off, s[60:63], 0 offset:240
	buffer_load_dword v43, off, s[60:63], 0 offset:244
	;; [unrolled: 1-line block ×4, first 2 shown]
	ds_read_b128 v[20:23], v156 offset:1600
	ds_read_b128 v[28:31], v156 offset:2400
	v_fma_f64 v[4:5], v[40:41], v[4:5], v[24:25]
	ds_read_b128 v[24:27], v156 offset:2000
	s_clause 0x3
	buffer_load_dword v54, off, s[60:63], 0 offset:208
	buffer_load_dword v55, off, s[60:63], 0 offset:212
	;; [unrolled: 1-line block ×4, first 2 shown]
	v_fma_f64 v[0:1], v[40:41], v[6:7], -v[34:35]
	v_lshlrev_b64 v[6:7], 4, v[32:33]
	v_add_co_u32 v40, s0, v2, v6
	v_add_co_ci_u32_e64 v41, s0, v3, v7, s0
	s_mul_i32 s0, s9, 25
	s_add_i32 s1, s1, s0
	s_mul_i32 s0, s8, 25
	s_lshl_b64 s[4:5], s[0:1], 4
	v_mul_f64 v[4:5], v[4:5], s[2:3]
	v_mul_f64 v[6:7], v[0:1], s[2:3]
	s_waitcnt vmcnt(4) lgkmcnt(4)
	v_mul_f64 v[36:37], v[44:45], v[10:11]
	v_mul_f64 v[38:39], v[44:45], v[8:9]
	v_fma_f64 v[32:33], v[42:43], v[8:9], v[36:37]
	v_fma_f64 v[34:35], v[42:43], v[10:11], -v[38:39]
	s_waitcnt vmcnt(0) lgkmcnt(3)
	v_mul_f64 v[36:37], v[56:57], v[14:15]
	v_mul_f64 v[38:39], v[56:57], v[12:13]
	s_clause 0x3
	buffer_load_dword v56, off, s[60:63], 0 offset:224
	buffer_load_dword v57, off, s[60:63], 0 offset:228
	;; [unrolled: 1-line block ×4, first 2 shown]
	v_mul_f64 v[32:33], v[32:33], s[2:3]
	v_mul_f64 v[34:35], v[34:35], s[2:3]
	v_fma_f64 v[0:1], v[54:55], v[12:13], v[36:37]
	v_fma_f64 v[36:37], v[54:55], v[14:15], -v[38:39]
	v_add_co_u32 v38, s0, v40, s4
	v_add_co_ci_u32_e64 v39, s0, s5, v41, s0
	s_waitcnt vmcnt(0) lgkmcnt(2)
	v_mul_f64 v[42:43], v[58:59], v[22:23]
	v_mul_f64 v[44:45], v[58:59], v[20:21]
	s_clause 0x3
	buffer_load_dword v58, off, s[60:63], 0 offset:256
	buffer_load_dword v59, off, s[60:63], 0 offset:260
	;; [unrolled: 1-line block ×4, first 2 shown]
	ds_read_b128 v[8:11], v156 offset:2800
	v_fma_f64 v[20:21], v[56:57], v[20:21], v[42:43]
	v_add_co_u32 v42, s0, v38, s4
	v_add_co_ci_u32_e64 v43, s0, s5, v39, s0
	v_fma_f64 v[22:23], v[56:57], v[22:23], -v[44:45]
	v_mul_f64 v[20:21], v[20:21], s[2:3]
	v_mul_f64 v[22:23], v[22:23], s[2:3]
	s_waitcnt vmcnt(0) lgkmcnt(1)
	v_mul_f64 v[46:47], v[60:61], v[26:27]
	v_mul_f64 v[48:49], v[60:61], v[24:25]
	s_clause 0x3
	buffer_load_dword v60, off, s[60:63], 0 offset:448
	buffer_load_dword v61, off, s[60:63], 0 offset:452
	;; [unrolled: 1-line block ×4, first 2 shown]
	ds_read_b128 v[12:15], v156 offset:3200
	v_fma_f64 v[24:25], v[58:59], v[24:25], v[46:47]
	v_fma_f64 v[26:27], v[58:59], v[26:27], -v[48:49]
	v_mul_f64 v[24:25], v[24:25], s[2:3]
	v_mul_f64 v[26:27], v[26:27], s[2:3]
	s_waitcnt vmcnt(0)
	v_mul_f64 v[52:53], v[62:63], v[28:29]
	v_mul_f64 v[50:51], v[62:63], v[30:31]
	v_fma_f64 v[30:31], v[60:61], v[30:31], -v[52:53]
	s_clause 0x3
	buffer_load_dword v52, off, s[60:63], 0 offset:432
	buffer_load_dword v53, off, s[60:63], 0 offset:436
	;; [unrolled: 1-line block ×4, first 2 shown]
	global_store_dwordx4 v[40:41], v[16:19], off
	global_store_dwordx4 v[38:39], v[4:7], off
	;; [unrolled: 1-line block ×3, first 2 shown]
	v_fma_f64 v[28:29], v[60:61], v[28:29], v[50:51]
	ds_read_b128 v[16:19], v156 offset:3600
	s_clause 0x3
	buffer_load_dword v48, off, s[60:63], 0 offset:416
	buffer_load_dword v49, off, s[60:63], 0 offset:420
	;; [unrolled: 1-line block ×4, first 2 shown]
	v_mul_f64 v[6:7], v[36:37], s[2:3]
	v_mul_f64 v[4:5], v[0:1], s[2:3]
	v_add_co_u32 v32, s0, v42, s4
	v_add_co_ci_u32_e64 v33, s0, s5, v43, s0
	v_add_co_u32 v40, s0, v32, s4
	v_add_co_ci_u32_e64 v41, s0, s5, v33, s0
	;; [unrolled: 2-line block ×3, first 2 shown]
	v_mul_f64 v[30:31], v[30:31], s[2:3]
	v_mul_f64 v[28:29], v[28:29], s[2:3]
	s_waitcnt vmcnt(4) lgkmcnt(2)
	v_mul_f64 v[44:45], v[54:55], v[10:11]
	v_mul_f64 v[46:47], v[54:55], v[8:9]
	s_waitcnt vmcnt(0) lgkmcnt(1)
	v_mul_f64 v[0:1], v[50:51], v[14:15]
	v_mul_f64 v[34:35], v[50:51], v[12:13]
	v_fma_f64 v[36:37], v[52:53], v[8:9], v[44:45]
	v_fma_f64 v[38:39], v[52:53], v[10:11], -v[46:47]
	ds_read_b128 v[8:11], v156 offset:4000
	s_clause 0x3
	buffer_load_dword v56, off, s[60:63], 0 offset:336
	buffer_load_dword v57, off, s[60:63], 0 offset:340
	;; [unrolled: 1-line block ×4, first 2 shown]
	v_add_co_u32 v44, s0, v42, s4
	v_add_co_ci_u32_e64 v45, s0, s5, v43, s0
	global_store_dwordx4 v[32:33], v[4:7], off
	global_store_dwordx4 v[40:41], v[20:23], off
	ds_read_b128 v[4:7], v156 offset:4400
	global_store_dwordx4 v[42:43], v[24:27], off
	global_store_dwordx4 v[44:45], v[28:31], off
	v_fma_f64 v[0:1], v[48:49], v[12:13], v[0:1]
	v_fma_f64 v[46:47], v[48:49], v[14:15], -v[34:35]
	v_add_co_u32 v44, s0, v44, s4
	v_add_co_ci_u32_e64 v45, s0, s5, v45, s0
	v_mul_f64 v[12:13], v[36:37], s[2:3]
	v_mul_f64 v[14:15], v[38:39], s[2:3]
	;; [unrolled: 1-line block ×4, first 2 shown]
	s_waitcnt vmcnt(0) lgkmcnt(2)
	v_mul_f64 v[48:49], v[58:59], v[18:19]
	v_mul_f64 v[50:51], v[58:59], v[16:17]
	s_clause 0x3
	buffer_load_dword v58, off, s[60:63], 0 offset:352
	buffer_load_dword v59, off, s[60:63], 0 offset:356
	;; [unrolled: 1-line block ×4, first 2 shown]
	ds_read_b128 v[20:23], v156 offset:4800
	ds_read_b128 v[24:27], v156 offset:5200
	;; [unrolled: 1-line block ×5, first 2 shown]
	s_clause 0xf
	buffer_load_dword v82, off, s[60:63], 0 offset:320
	buffer_load_dword v83, off, s[60:63], 0 offset:324
	;; [unrolled: 1-line block ×16, first 2 shown]
	v_fma_f64 v[0:1], v[56:57], v[16:17], v[48:49]
	v_fma_f64 v[16:17], v[56:57], v[18:19], -v[50:51]
	v_add_co_u32 v48, s0, v44, s4
	v_add_co_ci_u32_e64 v49, s0, s5, v45, s0
	s_waitcnt vmcnt(16) lgkmcnt(6)
	v_mul_f64 v[52:53], v[60:61], v[10:11]
	v_mul_f64 v[54:55], v[60:61], v[8:9]
	s_waitcnt vmcnt(12) lgkmcnt(5)
	v_mul_f64 v[18:19], v[84:85], v[6:7]
	v_mul_f64 v[46:47], v[84:85], v[4:5]
	s_clause 0x3
	buffer_load_dword v84, off, s[60:63], 0 offset:368
	buffer_load_dword v85, off, s[60:63], 0 offset:372
	;; [unrolled: 1-line block ×4, first 2 shown]
	s_waitcnt vmcnt(4) lgkmcnt(2)
	v_mul_f64 v[62:63], v[90:91], v[30:31]
	v_mul_f64 v[64:65], v[90:91], v[28:29]
	s_clause 0x3
	buffer_load_dword v90, off, s[60:63], 0 offset:400
	buffer_load_dword v91, off, s[60:63], 0 offset:404
	;; [unrolled: 1-line block ×4, first 2 shown]
	v_mul_f64 v[50:51], v[80:81], v[22:23]
	v_mul_f64 v[56:57], v[80:81], v[20:21]
	;; [unrolled: 1-line block ×3, first 2 shown]
	global_store_dwordx4 v[44:45], v[12:15], off
	global_store_dwordx4 v[48:49], v[36:39], off
	v_add_co_u32 v36, s0, v48, s4
	v_add_co_ci_u32_e64 v37, s0, s5, v49, s0
	v_add_co_u32 v38, s0, v36, s4
	v_fma_f64 v[52:53], v[58:59], v[8:9], v[52:53]
	v_fma_f64 v[54:55], v[58:59], v[10:11], -v[54:55]
	v_mul_f64 v[58:59], v[76:77], v[26:27]
	v_mul_f64 v[8:9], v[0:1], s[2:3]
	;; [unrolled: 1-line block ×3, first 2 shown]
	v_fma_f64 v[0:1], v[82:83], v[4:5], v[18:19]
	v_fma_f64 v[14:15], v[82:83], v[6:7], -v[46:47]
	v_add_co_ci_u32_e64 v39, s0, s5, v37, s0
	v_fma_f64 v[16:17], v[78:79], v[20:21], v[50:51]
	v_fma_f64 v[18:19], v[78:79], v[22:23], -v[56:57]
	v_fma_f64 v[22:23], v[74:75], v[26:27], -v[60:61]
	;; [unrolled: 1-line block ×3, first 2 shown]
	v_mul_f64 v[4:5], v[52:53], s[2:3]
	v_mul_f64 v[6:7], v[54:55], s[2:3]
	v_fma_f64 v[20:21], v[74:75], v[24:25], v[58:59]
	v_fma_f64 v[24:25], v[88:89], v[28:29], v[62:63]
	global_store_dwordx4 v[36:37], v[8:11], off
	v_mul_f64 v[12:13], v[0:1], s[2:3]
	v_add_co_u32 v0, s0, v38, s4
	v_add_co_ci_u32_e64 v1, s0, s5, v39, s0
	v_mul_f64 v[14:15], v[14:15], s[2:3]
	v_mul_f64 v[16:17], v[16:17], s[2:3]
	;; [unrolled: 1-line block ×5, first 2 shown]
	global_store_dwordx4 v[38:39], v[4:7], off
	v_mul_f64 v[20:21], v[20:21], s[2:3]
	v_mul_f64 v[24:25], v[24:25], s[2:3]
	global_store_dwordx4 v[0:1], v[12:15], off
	s_waitcnt vmcnt(4) lgkmcnt(1)
	v_mul_f64 v[66:67], v[86:87], v[34:35]
	v_mul_f64 v[68:69], v[86:87], v[32:33]
	s_waitcnt vmcnt(0) lgkmcnt(0)
	v_mul_f64 v[70:71], v[92:93], v[42:43]
	v_mul_f64 v[72:73], v[92:93], v[40:41]
	v_fma_f64 v[28:29], v[84:85], v[32:33], v[66:67]
	v_fma_f64 v[30:31], v[84:85], v[34:35], -v[68:69]
	v_fma_f64 v[32:33], v[90:91], v[40:41], v[70:71]
	v_fma_f64 v[34:35], v[90:91], v[42:43], -v[72:73]
	v_add_co_u32 v40, s0, v0, s4
	v_add_co_ci_u32_e64 v41, s0, s5, v1, s0
	v_add_co_u32 v42, s0, v40, s4
	v_add_co_ci_u32_e64 v43, s0, s5, v41, s0
	v_add_co_u32 v8, s0, v42, s4
	v_add_co_ci_u32_e64 v9, s0, s5, v43, s0
	v_add_co_u32 v4, s0, v8, s4
	v_mul_f64 v[28:29], v[28:29], s[2:3]
	v_mul_f64 v[30:31], v[30:31], s[2:3]
	v_add_co_ci_u32_e64 v5, s0, s5, v9, s0
	v_mul_f64 v[32:33], v[32:33], s[2:3]
	v_mul_f64 v[34:35], v[34:35], s[2:3]
	v_add_co_u32 v0, s0, v4, s4
	v_add_co_ci_u32_e64 v1, s0, s5, v5, s0
	global_store_dwordx4 v[40:41], v[16:19], off
	global_store_dwordx4 v[42:43], v[20:23], off
	;; [unrolled: 1-line block ×5, first 2 shown]
	s_and_b32 exec_lo, exec_lo, vcc_lo
	s_cbranch_execz .LBB0_15
; %bb.14:
	s_clause 0x1
	buffer_load_dword v18, off, s[60:63], 0 offset:176
	buffer_load_dword v19, off, s[60:63], 0 offset:180
	ds_read_b128 v[8:11], v159 offset:272
	v_mad_u64_u32 v[0:1], null, 0xffffe810, s8, v[0:1]
	s_mul_i32 s0, s9, 0xffffe810
	s_sub_i32 s0, s0, s8
	v_add_nc_u32_e32 v1, s0, v1
	s_mul_i32 s0, s9, 0x320
	s_waitcnt vmcnt(0)
	global_load_dwordx4 v[4:7], v[18:19], off offset:272
	s_waitcnt vmcnt(0) lgkmcnt(0)
	v_mul_f64 v[12:13], v[10:11], v[6:7]
	v_mul_f64 v[6:7], v[8:9], v[6:7]
	v_fma_f64 v[8:9], v[8:9], v[4:5], v[12:13]
	v_fma_f64 v[6:7], v[4:5], v[10:11], -v[6:7]
	v_mul_f64 v[4:5], v[8:9], s[2:3]
	v_mul_f64 v[6:7], v[6:7], s[2:3]
	global_store_dwordx4 v[0:1], v[4:7], off
	global_load_dwordx4 v[4:7], v[18:19], off offset:672
	ds_read_b128 v[8:11], v156 offset:672
	ds_read_b128 v[12:15], v156 offset:1072
	v_add_co_u32 v0, vcc_lo, v0, s4
	v_add_co_ci_u32_e32 v1, vcc_lo, s5, v1, vcc_lo
	s_waitcnt vmcnt(0) lgkmcnt(1)
	v_mul_f64 v[16:17], v[10:11], v[6:7]
	v_mul_f64 v[6:7], v[8:9], v[6:7]
	v_fma_f64 v[8:9], v[8:9], v[4:5], v[16:17]
	v_fma_f64 v[6:7], v[4:5], v[10:11], -v[6:7]
	v_mul_f64 v[4:5], v[8:9], s[2:3]
	v_mul_f64 v[6:7], v[6:7], s[2:3]
	global_store_dwordx4 v[0:1], v[4:7], off
	global_load_dwordx4 v[4:7], v[18:19], off offset:1072
	v_add_co_u32 v0, vcc_lo, v0, s4
	v_add_co_ci_u32_e32 v1, vcc_lo, s5, v1, vcc_lo
	s_waitcnt vmcnt(0) lgkmcnt(0)
	v_mul_f64 v[8:9], v[14:15], v[6:7]
	v_mul_f64 v[6:7], v[12:13], v[6:7]
	v_fma_f64 v[8:9], v[12:13], v[4:5], v[8:9]
	v_fma_f64 v[6:7], v[4:5], v[14:15], -v[6:7]
	v_mul_f64 v[4:5], v[8:9], s[2:3]
	v_mul_f64 v[6:7], v[6:7], s[2:3]
	global_store_dwordx4 v[0:1], v[4:7], off
	global_load_dwordx4 v[4:7], v[18:19], off offset:1472
	ds_read_b128 v[8:11], v156 offset:1472
	ds_read_b128 v[12:15], v156 offset:1872
	v_add_co_u32 v0, vcc_lo, v0, s4
	v_add_co_ci_u32_e32 v1, vcc_lo, s5, v1, vcc_lo
	s_waitcnt vmcnt(0) lgkmcnt(1)
	v_mul_f64 v[16:17], v[10:11], v[6:7]
	v_mul_f64 v[6:7], v[8:9], v[6:7]
	v_fma_f64 v[8:9], v[8:9], v[4:5], v[16:17]
	v_fma_f64 v[6:7], v[4:5], v[10:11], -v[6:7]
	v_mul_f64 v[4:5], v[8:9], s[2:3]
	v_mul_f64 v[6:7], v[6:7], s[2:3]
	global_store_dwordx4 v[0:1], v[4:7], off
	global_load_dwordx4 v[4:7], v[18:19], off offset:1872
	v_add_co_u32 v0, vcc_lo, v0, s4
	v_add_co_ci_u32_e32 v1, vcc_lo, s5, v1, vcc_lo
	s_waitcnt vmcnt(0) lgkmcnt(0)
	v_mul_f64 v[8:9], v[14:15], v[6:7]
	v_mul_f64 v[6:7], v[12:13], v[6:7]
	v_fma_f64 v[8:9], v[12:13], v[4:5], v[8:9]
	v_fma_f64 v[6:7], v[4:5], v[14:15], -v[6:7]
	v_mul_f64 v[4:5], v[8:9], s[2:3]
	v_mul_f64 v[6:7], v[6:7], s[2:3]
	global_store_dwordx4 v[0:1], v[4:7], off
	s_clause 0x1
	buffer_load_dword v18, off, s[60:63], 0 offset:168
	buffer_load_dword v19, off, s[60:63], 0 offset:172
	v_add_co_u32 v0, vcc_lo, v0, s4
	v_add_co_ci_u32_e32 v1, vcc_lo, s5, v1, vcc_lo
	s_waitcnt vmcnt(0)
	global_load_dwordx4 v[4:7], v[18:19], off offset:224
	ds_read_b128 v[8:11], v156 offset:2272
	ds_read_b128 v[12:15], v156 offset:2672
	buffer_load_dword v20, off, s[60:63], 0 offset:804 ; 4-byte Folded Reload
	s_waitcnt vmcnt(1) lgkmcnt(1)
	v_mul_f64 v[16:17], v[10:11], v[6:7]
	v_mul_f64 v[6:7], v[8:9], v[6:7]
	v_fma_f64 v[8:9], v[8:9], v[4:5], v[16:17]
	v_fma_f64 v[6:7], v[4:5], v[10:11], -v[6:7]
	v_mul_f64 v[4:5], v[8:9], s[2:3]
	v_mul_f64 v[6:7], v[6:7], s[2:3]
	global_store_dwordx4 v[0:1], v[4:7], off
	global_load_dwordx4 v[4:7], v[18:19], off offset:624
	v_add_co_u32 v0, vcc_lo, v0, s4
	v_add_co_ci_u32_e32 v1, vcc_lo, s5, v1, vcc_lo
	s_waitcnt vmcnt(0) lgkmcnt(0)
	v_mul_f64 v[8:9], v[14:15], v[6:7]
	v_mul_f64 v[6:7], v[12:13], v[6:7]
	v_fma_f64 v[8:9], v[12:13], v[4:5], v[8:9]
	v_fma_f64 v[6:7], v[4:5], v[14:15], -v[6:7]
	v_mul_f64 v[4:5], v[8:9], s[2:3]
	v_mul_f64 v[6:7], v[6:7], s[2:3]
	v_lshlrev_b32_e32 v8, 4, v20
	global_store_dwordx4 v[0:1], v[4:7], off
	global_load_dwordx4 v[4:7], v8, s[6:7]
	ds_read_b128 v[8:11], v156 offset:3072
	ds_read_b128 v[12:15], v156 offset:3472
	v_mad_u64_u32 v[0:1], null, 0x320, s8, v[0:1]
	v_add_nc_u32_e32 v1, s0, v1
	s_waitcnt vmcnt(0) lgkmcnt(1)
	v_mul_f64 v[16:17], v[10:11], v[6:7]
	v_mul_f64 v[6:7], v[8:9], v[6:7]
	v_fma_f64 v[8:9], v[8:9], v[4:5], v[16:17]
	v_fma_f64 v[6:7], v[4:5], v[10:11], -v[6:7]
	v_mad_u64_u32 v[10:11], null, s8, v20, 0
	v_mov_b32_e32 v4, v11
	v_mad_u64_u32 v[16:17], null, s9, v20, v[4:5]
	v_mul_f64 v[4:5], v[8:9], s[2:3]
	v_mul_f64 v[6:7], v[6:7], s[2:3]
	v_mov_b32_e32 v11, v16
	v_lshlrev_b64 v[8:9], 4, v[10:11]
	v_add_co_u32 v8, vcc_lo, v2, v8
	v_add_co_ci_u32_e32 v9, vcc_lo, v3, v9, vcc_lo
	global_store_dwordx4 v[8:9], v[4:7], off
	global_load_dwordx4 v[4:7], v[18:19], off offset:1424
	s_waitcnt vmcnt(0) lgkmcnt(0)
	v_mul_f64 v[8:9], v[14:15], v[6:7]
	v_mul_f64 v[6:7], v[12:13], v[6:7]
	v_fma_f64 v[8:9], v[12:13], v[4:5], v[8:9]
	v_fma_f64 v[6:7], v[4:5], v[14:15], -v[6:7]
	v_mul_f64 v[4:5], v[8:9], s[2:3]
	v_mul_f64 v[6:7], v[6:7], s[2:3]
	global_store_dwordx4 v[0:1], v[4:7], off
	global_load_dwordx4 v[4:7], v[18:19], off offset:1824
	ds_read_b128 v[8:11], v156 offset:3872
	ds_read_b128 v[12:15], v156 offset:4272
	v_add_co_u32 v0, vcc_lo, v0, s4
	v_add_co_ci_u32_e32 v1, vcc_lo, s5, v1, vcc_lo
	s_waitcnt vmcnt(0) lgkmcnt(1)
	v_mul_f64 v[16:17], v[10:11], v[6:7]
	v_mul_f64 v[6:7], v[8:9], v[6:7]
	v_fma_f64 v[8:9], v[8:9], v[4:5], v[16:17]
	v_fma_f64 v[6:7], v[4:5], v[10:11], -v[6:7]
	v_mul_f64 v[4:5], v[8:9], s[2:3]
	v_mul_f64 v[6:7], v[6:7], s[2:3]
	global_store_dwordx4 v[0:1], v[4:7], off
	s_clause 0x1
	buffer_load_dword v18, off, s[60:63], 0 offset:152
	buffer_load_dword v19, off, s[60:63], 0 offset:156
	v_add_co_u32 v0, vcc_lo, v0, s4
	v_add_co_ci_u32_e32 v1, vcc_lo, s5, v1, vcc_lo
	s_waitcnt vmcnt(0)
	global_load_dwordx4 v[4:7], v[18:19], off offset:176
	s_waitcnt vmcnt(0) lgkmcnt(0)
	v_mul_f64 v[8:9], v[14:15], v[6:7]
	v_mul_f64 v[6:7], v[12:13], v[6:7]
	v_fma_f64 v[8:9], v[12:13], v[4:5], v[8:9]
	v_fma_f64 v[6:7], v[4:5], v[14:15], -v[6:7]
	v_mul_f64 v[4:5], v[8:9], s[2:3]
	v_mul_f64 v[6:7], v[6:7], s[2:3]
	global_store_dwordx4 v[0:1], v[4:7], off
	global_load_dwordx4 v[4:7], v[18:19], off offset:576
	ds_read_b128 v[8:11], v156 offset:4672
	ds_read_b128 v[12:15], v156 offset:5072
	v_add_co_u32 v0, vcc_lo, v0, s4
	v_add_co_ci_u32_e32 v1, vcc_lo, s5, v1, vcc_lo
	s_waitcnt vmcnt(0) lgkmcnt(1)
	v_mul_f64 v[16:17], v[10:11], v[6:7]
	v_mul_f64 v[6:7], v[8:9], v[6:7]
	v_fma_f64 v[8:9], v[8:9], v[4:5], v[16:17]
	v_fma_f64 v[6:7], v[4:5], v[10:11], -v[6:7]
	v_mul_f64 v[4:5], v[8:9], s[2:3]
	v_mul_f64 v[6:7], v[6:7], s[2:3]
	global_store_dwordx4 v[0:1], v[4:7], off
	global_load_dwordx4 v[4:7], v[18:19], off offset:976
	v_add_co_u32 v0, vcc_lo, v0, s4
	v_add_co_ci_u32_e32 v1, vcc_lo, s5, v1, vcc_lo
	s_waitcnt vmcnt(0) lgkmcnt(0)
	v_mul_f64 v[8:9], v[14:15], v[6:7]
	v_mul_f64 v[6:7], v[12:13], v[6:7]
	v_fma_f64 v[8:9], v[12:13], v[4:5], v[8:9]
	v_fma_f64 v[6:7], v[4:5], v[14:15], -v[6:7]
	v_mul_f64 v[4:5], v[8:9], s[2:3]
	v_mul_f64 v[6:7], v[6:7], s[2:3]
	global_store_dwordx4 v[0:1], v[4:7], off
	global_load_dwordx4 v[4:7], v[18:19], off offset:1376
	ds_read_b128 v[8:11], v156 offset:5472
	ds_read_b128 v[12:15], v156 offset:5872
	v_add_co_u32 v0, vcc_lo, v0, s4
	v_add_co_ci_u32_e32 v1, vcc_lo, s5, v1, vcc_lo
	s_waitcnt vmcnt(0) lgkmcnt(1)
	v_mul_f64 v[16:17], v[10:11], v[6:7]
	v_mul_f64 v[6:7], v[8:9], v[6:7]
	v_fma_f64 v[8:9], v[8:9], v[4:5], v[16:17]
	v_fma_f64 v[6:7], v[4:5], v[10:11], -v[6:7]
	v_add_co_u32 v16, vcc_lo, v0, s4
	v_add_co_ci_u32_e32 v17, vcc_lo, s5, v1, vcc_lo
	v_mul_f64 v[4:5], v[8:9], s[2:3]
	v_mul_f64 v[6:7], v[6:7], s[2:3]
	global_store_dwordx4 v[0:1], v[4:7], off
	global_load_dwordx4 v[4:7], v[18:19], off offset:1776
	buffer_load_dword v18, off, s[60:63], 0 offset:800 ; 4-byte Folded Reload
	s_waitcnt vmcnt(1) lgkmcnt(0)
	v_mul_f64 v[8:9], v[14:15], v[6:7]
	v_mul_f64 v[6:7], v[12:13], v[6:7]
	s_waitcnt vmcnt(0)
	v_lshlrev_b32_e32 v0, 4, v18
	v_fma_f64 v[8:9], v[12:13], v[4:5], v[8:9]
	v_fma_f64 v[6:7], v[4:5], v[14:15], -v[6:7]
	v_mul_f64 v[4:5], v[8:9], s[2:3]
	v_mul_f64 v[6:7], v[6:7], s[2:3]
	global_store_dwordx4 v[16:17], v[4:7], off
	global_load_dwordx4 v[4:7], v0, s[6:7]
	ds_read_b128 v[8:11], v156 offset:6272
	ds_read_b128 v[12:15], v156 offset:6672
	s_waitcnt vmcnt(0) lgkmcnt(1)
	v_mul_f64 v[0:1], v[10:11], v[6:7]
	v_mul_f64 v[6:7], v[8:9], v[6:7]
	v_fma_f64 v[0:1], v[8:9], v[4:5], v[0:1]
	v_fma_f64 v[6:7], v[4:5], v[10:11], -v[6:7]
	v_mad_u64_u32 v[8:9], null, s8, v18, 0
	v_mov_b32_e32 v4, v9
	v_mad_u64_u32 v[9:10], null, s9, v18, v[4:5]
	v_mul_f64 v[4:5], v[0:1], s[2:3]
	v_mul_f64 v[6:7], v[6:7], s[2:3]
	v_lshlrev_b64 v[0:1], 4, v[8:9]
	v_add_co_u32 v0, vcc_lo, v2, v0
	v_add_co_ci_u32_e32 v1, vcc_lo, v3, v1, vcc_lo
	global_store_dwordx4 v[0:1], v[4:7], off
	s_clause 0x1
	buffer_load_dword v0, off, s[60:63], 0 offset:160
	buffer_load_dword v1, off, s[60:63], 0 offset:164
	s_waitcnt vmcnt(0)
	global_load_dwordx4 v[0:3], v[0:1], off offset:528
	s_waitcnt vmcnt(0) lgkmcnt(0)
	v_mul_f64 v[4:5], v[14:15], v[2:3]
	v_mul_f64 v[2:3], v[12:13], v[2:3]
	v_fma_f64 v[4:5], v[12:13], v[0:1], v[4:5]
	v_fma_f64 v[2:3], v[0:1], v[14:15], -v[2:3]
	v_mul_f64 v[0:1], v[4:5], s[2:3]
	v_mul_f64 v[2:3], v[2:3], s[2:3]
	v_mad_u64_u32 v[4:5], null, 0x320, s8, v[16:17]
	v_add_nc_u32_e32 v5, s0, v5
	global_store_dwordx4 v[4:5], v[0:3], off
.LBB0_15:
	s_endpgm
	.section	.rodata,"a",@progbits
	.p2align	6, 0x0
	.amdhsa_kernel bluestein_single_back_len425_dim1_dp_op_CI_CI
		.amdhsa_group_segment_fixed_size 20400
		.amdhsa_private_segment_fixed_size 1256
		.amdhsa_kernarg_size 104
		.amdhsa_user_sgpr_count 6
		.amdhsa_user_sgpr_private_segment_buffer 1
		.amdhsa_user_sgpr_dispatch_ptr 0
		.amdhsa_user_sgpr_queue_ptr 0
		.amdhsa_user_sgpr_kernarg_segment_ptr 1
		.amdhsa_user_sgpr_dispatch_id 0
		.amdhsa_user_sgpr_flat_scratch_init 0
		.amdhsa_user_sgpr_private_segment_size 0
		.amdhsa_wavefront_size32 1
		.amdhsa_uses_dynamic_stack 0
		.amdhsa_system_sgpr_private_segment_wavefront_offset 1
		.amdhsa_system_sgpr_workgroup_id_x 1
		.amdhsa_system_sgpr_workgroup_id_y 0
		.amdhsa_system_sgpr_workgroup_id_z 0
		.amdhsa_system_sgpr_workgroup_info 0
		.amdhsa_system_vgpr_workitem_id 0
		.amdhsa_next_free_vgpr 256
		.amdhsa_next_free_sgpr 64
		.amdhsa_reserve_vcc 1
		.amdhsa_reserve_flat_scratch 0
		.amdhsa_float_round_mode_32 0
		.amdhsa_float_round_mode_16_64 0
		.amdhsa_float_denorm_mode_32 3
		.amdhsa_float_denorm_mode_16_64 3
		.amdhsa_dx10_clamp 1
		.amdhsa_ieee_mode 1
		.amdhsa_fp16_overflow 0
		.amdhsa_workgroup_processor_mode 1
		.amdhsa_memory_ordered 1
		.amdhsa_forward_progress 0
		.amdhsa_shared_vgpr_count 0
		.amdhsa_exception_fp_ieee_invalid_op 0
		.amdhsa_exception_fp_denorm_src 0
		.amdhsa_exception_fp_ieee_div_zero 0
		.amdhsa_exception_fp_ieee_overflow 0
		.amdhsa_exception_fp_ieee_underflow 0
		.amdhsa_exception_fp_ieee_inexact 0
		.amdhsa_exception_int_div_zero 0
	.end_amdhsa_kernel
	.text
.Lfunc_end0:
	.size	bluestein_single_back_len425_dim1_dp_op_CI_CI, .Lfunc_end0-bluestein_single_back_len425_dim1_dp_op_CI_CI
                                        ; -- End function
	.section	.AMDGPU.csdata,"",@progbits
; Kernel info:
; codeLenInByte = 56328
; NumSgprs: 66
; NumVgprs: 256
; ScratchSize: 1256
; MemoryBound: 0
; FloatMode: 240
; IeeeMode: 1
; LDSByteSize: 20400 bytes/workgroup (compile time only)
; SGPRBlocks: 8
; VGPRBlocks: 31
; NumSGPRsForWavesPerEU: 66
; NumVGPRsForWavesPerEU: 256
; Occupancy: 3
; WaveLimiterHint : 1
; COMPUTE_PGM_RSRC2:SCRATCH_EN: 1
; COMPUTE_PGM_RSRC2:USER_SGPR: 6
; COMPUTE_PGM_RSRC2:TRAP_HANDLER: 0
; COMPUTE_PGM_RSRC2:TGID_X_EN: 1
; COMPUTE_PGM_RSRC2:TGID_Y_EN: 0
; COMPUTE_PGM_RSRC2:TGID_Z_EN: 0
; COMPUTE_PGM_RSRC2:TIDIG_COMP_CNT: 0
	.text
	.p2alignl 6, 3214868480
	.fill 48, 4, 3214868480
	.type	__hip_cuid_642cb380d761e392,@object ; @__hip_cuid_642cb380d761e392
	.section	.bss,"aw",@nobits
	.globl	__hip_cuid_642cb380d761e392
__hip_cuid_642cb380d761e392:
	.byte	0                               ; 0x0
	.size	__hip_cuid_642cb380d761e392, 1

	.ident	"AMD clang version 19.0.0git (https://github.com/RadeonOpenCompute/llvm-project roc-6.4.0 25133 c7fe45cf4b819c5991fe208aaa96edf142730f1d)"
	.section	".note.GNU-stack","",@progbits
	.addrsig
	.addrsig_sym __hip_cuid_642cb380d761e392
	.amdgpu_metadata
---
amdhsa.kernels:
  - .args:
      - .actual_access:  read_only
        .address_space:  global
        .offset:         0
        .size:           8
        .value_kind:     global_buffer
      - .actual_access:  read_only
        .address_space:  global
        .offset:         8
        .size:           8
        .value_kind:     global_buffer
      - .actual_access:  read_only
        .address_space:  global
        .offset:         16
        .size:           8
        .value_kind:     global_buffer
      - .actual_access:  read_only
        .address_space:  global
        .offset:         24
        .size:           8
        .value_kind:     global_buffer
      - .actual_access:  read_only
        .address_space:  global
        .offset:         32
        .size:           8
        .value_kind:     global_buffer
      - .offset:         40
        .size:           8
        .value_kind:     by_value
      - .address_space:  global
        .offset:         48
        .size:           8
        .value_kind:     global_buffer
      - .address_space:  global
        .offset:         56
        .size:           8
        .value_kind:     global_buffer
      - .address_space:  global
        .offset:         64
        .size:           8
        .value_kind:     global_buffer
      - .address_space:  global
        .offset:         72
        .size:           8
        .value_kind:     global_buffer
      - .offset:         80
        .size:           4
        .value_kind:     by_value
      - .address_space:  global
        .offset:         88
        .size:           8
        .value_kind:     global_buffer
      - .address_space:  global
        .offset:         96
        .size:           8
        .value_kind:     global_buffer
    .group_segment_fixed_size: 20400
    .kernarg_segment_align: 8
    .kernarg_segment_size: 104
    .language:       OpenCL C
    .language_version:
      - 2
      - 0
    .max_flat_workgroup_size: 51
    .name:           bluestein_single_back_len425_dim1_dp_op_CI_CI
    .private_segment_fixed_size: 1256
    .sgpr_count:     66
    .sgpr_spill_count: 0
    .symbol:         bluestein_single_back_len425_dim1_dp_op_CI_CI.kd
    .uniform_work_group_size: 1
    .uses_dynamic_stack: false
    .vgpr_count:     256
    .vgpr_spill_count: 450
    .wavefront_size: 32
    .workgroup_processor_mode: 1
amdhsa.target:   amdgcn-amd-amdhsa--gfx1030
amdhsa.version:
  - 1
  - 2
...

	.end_amdgpu_metadata
